;; amdgpu-corpus repo=ROCm/rocFFT kind=compiled arch=gfx950 opt=O3
	.text
	.amdgcn_target "amdgcn-amd-amdhsa--gfx950"
	.amdhsa_code_object_version 6
	.protected	bluestein_single_fwd_len975_dim1_dp_op_CI_CI ; -- Begin function bluestein_single_fwd_len975_dim1_dp_op_CI_CI
	.globl	bluestein_single_fwd_len975_dim1_dp_op_CI_CI
	.p2align	8
	.type	bluestein_single_fwd_len975_dim1_dp_op_CI_CI,@function
bluestein_single_fwd_len975_dim1_dp_op_CI_CI: ; @bluestein_single_fwd_len975_dim1_dp_op_CI_CI
; %bb.0:
	s_load_dwordx4 s[12:15], s[0:1], 0x28
	v_mul_u32_u24_e32 v1, 0x691, v0
	v_lshrrev_b32_e32 v2, 16, v1
	v_mad_u64_u32 v[226:227], s[2:3], s2, 3, v[2:3]
	v_mov_b32_e32 v225, 0
	v_mov_b32_e32 v227, v225
	s_waitcnt lgkmcnt(0)
	v_cmp_gt_u64_e32 vcc, s[12:13], v[226:227]
	s_and_saveexec_b64 s[2:3], vcc
	s_cbranch_execz .LBB0_23
; %bb.1:
	s_load_dwordx4 s[4:7], s[0:1], 0x18
	s_load_dwordx2 s[12:13], s[0:1], 0x0
	v_mul_lo_u16_e32 v1, 39, v2
	v_sub_u16_e32 v224, v0, v1
	v_mov_b32_e32 v4, s14
	s_waitcnt lgkmcnt(0)
	s_load_dwordx4 s[8:11], s[4:5], 0x0
	v_mov_b32_e32 v5, s15
	v_lshlrev_b32_e32 v136, 4, v224
	global_load_dwordx4 v[228:231], v136, s[12:13]
	v_mov_b32_e32 v137, v225
	s_waitcnt lgkmcnt(0)
	v_mad_u64_u32 v[0:1], s[2:3], s10, v226, 0
	v_mov_b32_e32 v2, v1
	v_mad_u64_u32 v[2:3], s[2:3], s11, v226, v[2:3]
	v_mov_b32_e32 v1, v2
	;; [unrolled: 2-line block ×3, first 2 shown]
	v_mad_u64_u32 v[6:7], s[2:3], s9, v224, v[6:7]
	s_mul_i32 s2, s9, 0x4b
	s_mul_hi_u32 s3, s8, 0x4b
	v_mov_b32_e32 v3, v6
	v_lshl_add_u64 v[0:1], v[0:1], 4, v[4:5]
	s_add_i32 s3, s3, s2
	s_mul_i32 s2, s8, 0x4b
	v_lshl_add_u64 v[4:5], v[2:3], 4, v[0:1]
	s_lshl_b64 s[2:3], s[2:3], 4
	global_load_dwordx4 v[0:3], v[4:5], off
	v_lshl_add_u64 v[8:9], v[4:5], 0, s[2:3]
	global_load_dwordx4 v[4:7], v[8:9], off
	global_load_dwordx4 v[90:93], v136, s[12:13] offset:1200
	global_load_dwordx4 v[66:69], v136, s[12:13] offset:2400
	v_lshl_add_u64 v[222:223], s[12:13], 0, v[136:137]
	v_lshl_add_u64 v[16:17], v[8:9], 0, s[2:3]
	s_movk_i32 s4, 0x1000
	v_lshl_add_u64 v[18:19], v[16:17], 0, s[2:3]
	global_load_dwordx4 v[12:15], v[16:17], off
	global_load_dwordx4 v[8:11], v[18:19], off
	global_load_dwordx4 v[86:89], v136, s[12:13] offset:3600
	v_add_co_u32_e32 v32, vcc, s4, v222
	v_lshl_add_u64 v[16:17], v[18:19], 0, s[2:3]
	s_nop 0
	v_addc_co_u32_e32 v33, vcc, 0, v223, vcc
	global_load_dwordx4 v[18:21], v[16:17], off
	global_load_dwordx4 v[74:77], v[32:33], off offset:704
	v_lshl_add_u64 v[16:17], v[16:17], 0, s[2:3]
	global_load_dwordx4 v[22:25], v[16:17], off
	global_load_dwordx4 v[94:97], v[32:33], off offset:1904
	v_lshl_add_u64 v[16:17], v[16:17], 0, s[2:3]
	s_movk_i32 s4, 0x2000
	global_load_dwordx4 v[26:29], v[16:17], off
	global_load_dwordx4 v[70:73], v[32:33], off offset:3104
	v_add_co_u32_e32 v34, vcc, s4, v222
	v_lshl_add_u64 v[16:17], v[16:17], 0, s[2:3]
	s_nop 0
	v_addc_co_u32_e32 v35, vcc, 0, v223, vcc
	global_load_dwordx4 v[38:41], v[16:17], off
	global_load_dwordx4 v[102:105], v[34:35], off offset:208
	v_lshl_add_u64 v[16:17], v[16:17], 0, s[2:3]
	global_load_dwordx4 v[42:45], v[16:17], off
	global_load_dwordx4 v[78:81], v[34:35], off offset:1408
	v_lshl_add_u64 v[16:17], v[16:17], 0, s[2:3]
	global_load_dwordx4 v[46:49], v[16:17], off
	s_movk_i32 s4, 0x3000
	v_lshl_add_u64 v[16:17], v[16:17], 0, s[2:3]
	global_load_dwordx4 v[110:113], v[34:35], off offset:2608
	global_load_dwordx4 v[50:53], v[16:17], off
	global_load_dwordx4 v[82:85], v[34:35], off offset:3808
	v_add_co_u32_e32 v36, vcc, s4, v222
	v_lshl_add_u64 v[16:17], v[16:17], 0, s[2:3]
	s_nop 0
	v_addc_co_u32_e32 v37, vcc, 0, v223, vcc
	global_load_dwordx4 v[54:57], v[16:17], off
	global_load_dwordx4 v[98:101], v[36:37], off offset:912
	v_lshl_add_u64 v[16:17], v[16:17], 0, s[2:3]
	global_load_dwordx4 v[106:109], v[36:37], off offset:2112
	global_load_dwordx4 v[58:61], v[16:17], off
	s_mov_b32 s4, 0xaaaaaaab
	v_mul_hi_u32 v30, v226, s4
	v_lshrrev_b32_e32 v30, 1, v30
	v_lshl_add_u32 v30, v30, 1, v30
	v_sub_u32_e32 v30, v226, v30
	v_mul_u32_u24_e32 v137, 0x3cf, v30
	v_lshlrev_b32_e32 v185, 4, v137
	v_add_u32_e32 v184, v136, v185
	s_load_dwordx2 s[10:11], s[0:1], 0x38
	v_cmp_gt_u16_e32 vcc, 36, v224
	s_load_dwordx4 s[4:7], s[6:7], 0x0
	s_waitcnt vmcnt(24)
	v_mul_f64 v[62:63], v[2:3], v[230:231]
	v_mul_f64 v[30:31], v[0:1], v[230:231]
	v_fmac_f64_e32 v[62:63], v[0:1], v[228:229]
	v_fma_f64 v[64:65], v[2:3], v[228:229], -v[30:31]
	s_waitcnt vmcnt(22)
	v_mul_f64 v[0:1], v[6:7], v[92:93]
	v_mul_f64 v[2:3], v[4:5], v[92:93]
	v_fmac_f64_e32 v[0:1], v[4:5], v[90:91]
	v_fma_f64 v[2:3], v[6:7], v[90:91], -v[2:3]
	ds_write_b128 v184, v[0:3] offset:1200
	s_waitcnt vmcnt(20)
	v_mul_f64 v[0:1], v[14:15], v[68:69]
	v_mul_f64 v[2:3], v[12:13], v[68:69]
	v_fmac_f64_e32 v[0:1], v[12:13], v[66:67]
	v_fma_f64 v[2:3], v[14:15], v[66:67], -v[2:3]
	ds_write_b128 v184, v[0:3] offset:2400
	;; [unrolled: 6-line block ×10, first 2 shown]
	s_waitcnt vmcnt(2)
	v_mul_f64 v[0:1], v[56:57], v[100:101]
	v_mul_f64 v[2:3], v[54:55], v[100:101]
	v_fmac_f64_e32 v[0:1], v[54:55], v[98:99]
	v_fma_f64 v[2:3], v[56:57], v[98:99], -v[2:3]
	v_accvgpr_write_b32 a34, v90
	v_accvgpr_write_b32 a10, v66
	;; [unrolled: 1-line block ×11, first 2 shown]
	ds_write_b128 v184, v[0:3] offset:13200
	s_waitcnt vmcnt(0)
	v_mul_f64 v[0:1], v[60:61], v[108:109]
	v_mul_f64 v[2:3], v[58:59], v[108:109]
	v_accvgpr_write_b32 a35, v91
	v_accvgpr_write_b32 a36, v92
	;; [unrolled: 1-line block ×33, first 2 shown]
	v_fmac_f64_e32 v[0:1], v[58:59], v[106:107]
	v_accvgpr_write_b32 a52, v109           ;  Reload Reuse
	v_accvgpr_write_b32 a53, v108           ;  Reload Reuse
	v_fma_f64 v[2:3], v[60:61], v[106:107], -v[2:3]
	ds_write_b128 v184, v[62:65]
	scratch_store_dwordx2 off, v[106:107], off offset:32 ; 8-byte Folded Spill
	ds_write_b128 v184, v[0:3] offset:14400
	s_and_saveexec_b64 s[14:15], vcc
	s_cbranch_execz .LBB0_3
; %bb.2:
	v_mov_b32_e32 v0, 0xffffca30
	s_mulk_i32 s9, 0xca30
	v_mad_u64_u32 v[8:9], s[16:17], s8, v0, v[16:17]
	s_sub_i32 s8, s9, s8
	v_add_u32_e32 v9, s8, v9
	global_load_dwordx4 v[0:3], v[8:9], off
	global_load_dwordx4 v[4:7], v[222:223], off offset:624
	v_lshl_add_u64 v[16:17], v[8:9], 0, s[2:3]
	global_load_dwordx4 v[8:11], v[16:17], off
	global_load_dwordx4 v[12:15], v[222:223], off offset:1824
	v_lshl_add_u64 v[28:29], v[16:17], 0, s[2:3]
	v_lshl_add_u64 v[38:39], v[28:29], 0, s[2:3]
	global_load_dwordx4 v[16:19], v[28:29], off
	global_load_dwordx4 v[20:23], v[222:223], off offset:3024
	global_load_dwordx4 v[24:27], v[32:33], off offset:128
	v_lshl_add_u64 v[50:51], v[38:39], 0, s[2:3]
	global_load_dwordx4 v[28:31], v[38:39], off
	v_lshl_add_u64 v[54:55], v[50:51], 0, s[2:3]
	global_load_dwordx4 v[38:41], v[50:51], off
	global_load_dwordx4 v[42:45], v[32:33], off offset:1328
	global_load_dwordx4 v[46:49], v[32:33], off offset:2528
	v_lshl_add_u64 v[66:67], v[54:55], 0, s[2:3]
	global_load_dwordx4 v[50:53], v[54:55], off
	s_nop 0
	global_load_dwordx4 v[54:57], v[66:67], off
	global_load_dwordx4 v[58:61], v[32:33], off offset:3728
                                        ; kill: killed $vgpr32 killed $vgpr33
	global_load_dwordx4 v[62:65], v[34:35], off offset:832
	v_lshl_add_u64 v[32:33], v[66:67], 0, s[2:3]
	global_load_dwordx4 v[66:69], v[32:33], off
	v_lshl_add_u64 v[78:79], v[32:33], 0, s[2:3]
	v_lshl_add_u64 v[82:83], v[78:79], 0, s[2:3]
	global_load_dwordx4 v[70:73], v[78:79], off
	global_load_dwordx4 v[74:77], v[34:35], off offset:2032
	s_nop 0
	global_load_dwordx4 v[32:35], v[34:35], off offset:3232
	v_lshl_add_u64 v[94:95], v[82:83], 0, s[2:3]
	global_load_dwordx4 v[78:81], v[82:83], off
	s_nop 0
	global_load_dwordx4 v[82:85], v[94:95], off
	global_load_dwordx4 v[86:89], v[36:37], off offset:336
	global_load_dwordx4 v[90:93], v[36:37], off offset:1536
	v_lshl_add_u64 v[102:103], v[94:95], 0, s[2:3]
	global_load_dwordx4 v[94:97], v[102:103], off
	global_load_dwordx4 v[98:101], v[36:37], off offset:2736
	v_lshl_add_u64 v[36:37], v[102:103], 0, s[2:3]
	global_load_dwordx4 v[102:105], v[36:37], off
	s_waitcnt vmcnt(24)
	v_mul_f64 v[106:107], v[2:3], v[6:7]
	v_mul_f64 v[6:7], v[0:1], v[6:7]
	v_fmac_f64_e32 v[106:107], v[0:1], v[4:5]
	v_fma_f64 v[108:109], v[2:3], v[4:5], -v[6:7]
	s_waitcnt vmcnt(22)
	v_mul_f64 v[0:1], v[10:11], v[14:15]
	v_mul_f64 v[2:3], v[8:9], v[14:15]
	v_fmac_f64_e32 v[0:1], v[8:9], v[12:13]
	v_fma_f64 v[2:3], v[10:11], v[12:13], -v[2:3]
	ds_write_b128 v184, v[0:3] offset:1824
	s_waitcnt vmcnt(18)
	v_mul_f64 v[0:1], v[30:31], v[26:27]
	v_mul_f64 v[2:3], v[28:29], v[26:27]
	;; [unrolled: 1-line block ×4, first 2 shown]
	v_fmac_f64_e32 v[0:1], v[28:29], v[24:25]
	v_fma_f64 v[2:3], v[30:31], v[24:25], -v[2:3]
	v_fmac_f64_e32 v[4:5], v[16:17], v[20:21]
	v_fma_f64 v[6:7], v[18:19], v[20:21], -v[6:7]
	ds_write_b128 v184, v[0:3] offset:4224
	s_waitcnt vmcnt(14)
	v_mul_f64 v[0:1], v[52:53], v[48:49]
	v_mul_f64 v[2:3], v[50:51], v[48:49]
	ds_write_b128 v184, v[4:7] offset:3024
	v_mul_f64 v[4:5], v[40:41], v[44:45]
	v_mul_f64 v[6:7], v[38:39], v[44:45]
	v_fmac_f64_e32 v[0:1], v[50:51], v[46:47]
	v_fma_f64 v[2:3], v[52:53], v[46:47], -v[2:3]
	v_fmac_f64_e32 v[4:5], v[38:39], v[42:43]
	v_fma_f64 v[6:7], v[40:41], v[42:43], -v[6:7]
	ds_write_b128 v184, v[0:3] offset:6624
	s_waitcnt vmcnt(10)
	v_mul_f64 v[0:1], v[68:69], v[64:65]
	v_mul_f64 v[2:3], v[66:67], v[64:65]
	ds_write_b128 v184, v[4:7] offset:5424
	v_mul_f64 v[4:5], v[56:57], v[60:61]
	v_mul_f64 v[6:7], v[54:55], v[60:61]
	;; [unrolled: 11-line block ×3, first 2 shown]
	v_fmac_f64_e32 v[0:1], v[78:79], v[32:33]
	v_fma_f64 v[2:3], v[80:81], v[32:33], -v[2:3]
	v_fmac_f64_e32 v[4:5], v[70:71], v[74:75]
	v_fma_f64 v[6:7], v[72:73], v[74:75], -v[6:7]
	ds_write_b128 v184, v[0:3] offset:11424
	s_waitcnt vmcnt(4)
	v_mul_f64 v[0:1], v[82:83], v[88:89]
	ds_write_b128 v184, v[4:7] offset:10224
	v_fma_f64 v[6:7], v[84:85], v[86:87], -v[0:1]
	s_waitcnt vmcnt(2)
	v_mul_f64 v[0:1], v[96:97], v[92:93]
	v_mul_f64 v[2:3], v[94:95], v[92:93]
	v_fmac_f64_e32 v[0:1], v[94:95], v[90:91]
	v_fma_f64 v[2:3], v[96:97], v[90:91], -v[2:3]
	v_mul_f64 v[4:5], v[84:85], v[88:89]
	ds_write_b128 v184, v[0:3] offset:13824
	s_waitcnt vmcnt(0)
	v_mul_f64 v[0:1], v[104:105], v[100:101]
	v_mul_f64 v[2:3], v[102:103], v[100:101]
	v_fmac_f64_e32 v[4:5], v[82:83], v[86:87]
	v_fmac_f64_e32 v[0:1], v[102:103], v[98:99]
	v_fma_f64 v[2:3], v[104:105], v[98:99], -v[2:3]
	ds_write_b128 v184, v[106:109] offset:624
	ds_write_b128 v184, v[4:7] offset:12624
	;; [unrolled: 1-line block ×3, first 2 shown]
.LBB0_3:
	s_or_b64 exec, exec, s[14:15]
	s_waitcnt lgkmcnt(0)
	s_barrier
	ds_read_b128 v[92:95], v184
	ds_read_b128 v[100:103], v184 offset:1200
	ds_read_b128 v[88:91], v184 offset:2400
	;; [unrolled: 1-line block ×12, first 2 shown]
	s_load_dwordx2 s[8:9], s[0:1], 0x8
                                        ; implicit-def: $vgpr4_vgpr5
                                        ; implicit-def: $vgpr8_vgpr9
                                        ; implicit-def: $vgpr12_vgpr13
                                        ; implicit-def: $vgpr16_vgpr17
                                        ; implicit-def: $vgpr20_vgpr21
                                        ; implicit-def: $vgpr24_vgpr25
                                        ; implicit-def: $vgpr28_vgpr29
                                        ; implicit-def: $vgpr32_vgpr33
                                        ; implicit-def: $vgpr36_vgpr37
                                        ; implicit-def: $vgpr40_vgpr41
                                        ; implicit-def: $vgpr44_vgpr45
                                        ; implicit-def: $vgpr48_vgpr49
                                        ; implicit-def: $vgpr52_vgpr53
	s_and_saveexec_b64 s[0:1], vcc
	s_cbranch_execz .LBB0_5
; %bb.4:
	ds_read_b128 v[4:7], v184 offset:624
	ds_read_b128 v[8:11], v184 offset:1824
	;; [unrolled: 1-line block ×13, first 2 shown]
.LBB0_5:
	s_or_b64 exec, exec, s[0:1]
	s_waitcnt lgkmcnt(0)
	v_add_f64 v[76:77], v[92:93], v[100:101]
	v_add_f64 v[78:79], v[94:95], v[102:103]
	v_add_f64 v[76:77], v[76:77], v[88:89]
	v_add_f64 v[78:79], v[78:79], v[90:91]
	v_add_f64 v[76:77], v[76:77], v[80:81]
	v_add_f64 v[78:79], v[78:79], v[82:83]
	v_add_f64 v[76:77], v[76:77], v[68:69]
	v_add_f64 v[78:79], v[78:79], v[70:71]
	v_add_f64 v[76:77], v[76:77], v[60:61]
	v_add_f64 v[78:79], v[78:79], v[62:63]
	v_add_f64 v[76:77], v[76:77], v[0:1]
	v_add_f64 v[78:79], v[78:79], v[2:3]
	v_add_f64 v[76:77], v[76:77], v[56:57]
	v_add_f64 v[78:79], v[78:79], v[58:59]
	v_add_f64 v[76:77], v[76:77], v[64:65]
	v_add_f64 v[78:79], v[78:79], v[66:67]
	v_add_f64 v[76:77], v[76:77], v[72:73]
	v_add_f64 v[78:79], v[78:79], v[74:75]
	v_add_f64 v[76:77], v[76:77], v[84:85]
	s_mov_b32 s18, 0x4267c47c
	s_mov_b32 s14, 0x42a4c3d2
	;; [unrolled: 1-line block ×6, first 2 shown]
	v_add_f64 v[78:79], v[78:79], v[86:87]
	v_add_f64 v[76:77], v[76:77], v[96:97]
	;; [unrolled: 1-line block ×3, first 2 shown]
	v_add_f64 v[102:103], v[102:103], -v[106:107]
	s_mov_b32 s19, 0xbfddbe06
	s_mov_b32 s0, 0xe00740e9
	;; [unrolled: 1-line block ×12, first 2 shown]
	v_add_f64 v[78:79], v[78:79], v[98:99]
	v_add_f64 v[76:77], v[76:77], v[104:105]
	;; [unrolled: 1-line block ×3, first 2 shown]
	v_add_f64 v[100:101], v[100:101], -v[104:105]
	v_mul_f64 v[104:105], v[102:103], s[18:19]
	s_mov_b32 s1, 0x3fec55a7
	v_mul_f64 v[118:119], v[102:103], s[14:15]
	s_mov_b32 s3, 0x3fe22d96
	;; [unrolled: 2-line block ×6, first 2 shown]
	v_add_f64 v[78:79], v[78:79], v[106:107]
	v_fma_f64 v[106:107], v[110:111], s[0:1], -v[104:105]
	v_mul_f64 v[114:115], v[100:101], s[18:19]
	v_fmac_f64_e32 v[104:105], s[0:1], v[110:111]
	v_fma_f64 v[120:121], v[110:111], s[2:3], -v[118:119]
	v_mul_f64 v[122:123], v[100:101], s[14:15]
	v_fmac_f64_e32 v[118:119], s[2:3], v[110:111]
	;; [unrolled: 3-line block ×6, first 2 shown]
	v_add_f64 v[106:107], v[92:93], v[106:107]
	v_fma_f64 v[116:117], s[0:1], v[112:113], v[114:115]
	v_add_f64 v[104:105], v[92:93], v[104:105]
	v_fma_f64 v[114:115], v[112:113], s[0:1], -v[114:115]
	v_add_f64 v[120:121], v[92:93], v[120:121]
	v_fma_f64 v[124:125], s[2:3], v[112:113], v[122:123]
	v_add_f64 v[118:119], v[92:93], v[118:119]
	v_fma_f64 v[122:123], v[112:113], s[2:3], -v[122:123]
	;; [unrolled: 4-line block ×6, first 2 shown]
	v_add_f64 v[102:103], v[90:91], v[98:99]
	v_add_f64 v[90:91], v[90:91], -v[98:99]
	v_add_f64 v[116:117], v[94:95], v[116:117]
	v_add_f64 v[114:115], v[94:95], v[114:115]
	;; [unrolled: 1-line block ×13, first 2 shown]
	v_add_f64 v[88:89], v[88:89], -v[96:97]
	v_mul_f64 v[96:97], v[90:91], s[14:15]
	v_fma_f64 v[98:99], v[100:101], s[2:3], -v[96:97]
	v_add_f64 v[98:99], v[98:99], v[106:107]
	v_mul_f64 v[106:107], v[88:89], s[14:15]
	v_fmac_f64_e32 v[96:97], s[2:3], v[100:101]
	v_fma_f64 v[110:111], s[2:3], v[102:103], v[106:107]
	v_add_f64 v[96:97], v[96:97], v[104:105]
	v_fma_f64 v[104:105], v[102:103], s[2:3], -v[106:107]
	v_mul_f64 v[106:107], v[90:91], s[22:23]
	v_add_f64 v[104:105], v[104:105], v[114:115]
	v_fma_f64 v[112:113], v[100:101], s[20:21], -v[106:107]
	v_mul_f64 v[114:115], v[88:89], s[22:23]
	v_fmac_f64_e32 v[106:107], s[20:21], v[100:101]
	v_add_f64 v[110:111], v[110:111], v[116:117]
	v_fma_f64 v[116:117], s[20:21], v[102:103], v[114:115]
	v_add_f64 v[106:107], v[106:107], v[118:119]
	v_fma_f64 v[114:115], v[102:103], s[20:21], -v[114:115]
	v_mul_f64 v[118:119], v[90:91], s[30:31]
	v_add_f64 v[112:113], v[112:113], v[120:121]
	v_add_f64 v[114:115], v[114:115], v[122:123]
	v_fma_f64 v[120:121], v[100:101], s[28:29], -v[118:119]
	v_mul_f64 v[122:123], v[88:89], s[30:31]
	v_fmac_f64_e32 v[118:119], s[28:29], v[100:101]
	s_mov_b32 s37, 0x3fe5384d
	s_mov_b32 s36, s34
	v_add_f64 v[116:117], v[116:117], v[124:125]
	v_fma_f64 v[124:125], s[28:29], v[102:103], v[122:123]
	v_add_f64 v[118:119], v[118:119], v[126:127]
	v_fma_f64 v[122:123], v[102:103], s[28:29], -v[122:123]
	v_mul_f64 v[126:127], v[90:91], s[36:37]
	v_add_f64 v[120:121], v[120:121], v[128:129]
	v_add_f64 v[122:123], v[122:123], v[130:131]
	v_fma_f64 v[128:129], v[100:101], s[24:25], -v[126:127]
	v_mul_f64 v[130:131], v[88:89], s[36:37]
	v_fmac_f64_e32 v[126:127], s[24:25], v[100:101]
	s_mov_b32 s39, 0x3fefc445
	s_mov_b32 s38, s26
	v_add_f64 v[124:125], v[124:125], v[132:133]
	v_fma_f64 v[132:133], s[24:25], v[102:103], v[130:131]
	v_add_f64 v[126:127], v[126:127], v[134:135]
	v_fma_f64 v[130:131], v[102:103], s[24:25], -v[130:131]
	v_mul_f64 v[134:135], v[90:91], s[38:39]
	s_mov_b32 s41, 0x3fddbe06
	s_mov_b32 s40, s18
	v_add_f64 v[128:129], v[128:129], v[138:139]
	v_add_f64 v[130:131], v[130:131], v[140:141]
	v_fma_f64 v[138:139], v[100:101], s[16:17], -v[134:135]
	v_mul_f64 v[140:141], v[88:89], s[38:39]
	v_mul_f64 v[88:89], v[88:89], s[40:41]
	v_add_f64 v[138:139], v[138:139], v[146:147]
	v_fmac_f64_e32 v[134:135], s[16:17], v[100:101]
	v_mul_f64 v[90:91], v[90:91], s[40:41]
	v_fma_f64 v[146:147], s[0:1], v[102:103], v[88:89]
	v_fma_f64 v[88:89], v[102:103], s[0:1], -v[88:89]
	v_add_f64 v[134:135], v[134:135], v[144:145]
	v_fma_f64 v[144:145], v[100:101], s[0:1], -v[90:91]
	v_fmac_f64_e32 v[90:91], s[0:1], v[100:101]
	v_add_f64 v[88:89], v[88:89], v[94:95]
	v_add_f64 v[94:95], v[82:83], v[86:87]
	v_add_f64 v[82:83], v[82:83], -v[86:87]
	v_add_f64 v[90:91], v[90:91], v[92:93]
	v_add_f64 v[92:93], v[80:81], v[84:85]
	v_add_f64 v[80:81], v[80:81], -v[84:85]
	v_mul_f64 v[84:85], v[82:83], s[26:27]
	v_fma_f64 v[86:87], v[92:93], s[16:17], -v[84:85]
	v_add_f64 v[86:87], v[86:87], v[98:99]
	v_mul_f64 v[98:99], v[80:81], s[26:27]
	v_fmac_f64_e32 v[84:85], s[16:17], v[92:93]
	v_fma_f64 v[100:101], s[16:17], v[94:95], v[98:99]
	v_add_f64 v[84:85], v[84:85], v[96:97]
	v_fma_f64 v[96:97], v[94:95], s[16:17], -v[98:99]
	v_mul_f64 v[98:99], v[82:83], s[30:31]
	v_add_f64 v[132:133], v[132:133], v[142:143]
	v_fma_f64 v[142:143], s[16:17], v[102:103], v[140:141]
	v_fma_f64 v[140:141], v[102:103], s[16:17], -v[140:141]
	v_fma_f64 v[102:103], v[92:93], s[28:29], -v[98:99]
	v_fmac_f64_e32 v[98:99], s[28:29], v[92:93]
	s_mov_b32 s43, 0x3fedeba7
	s_mov_b32 s42, s22
	v_add_f64 v[96:97], v[96:97], v[104:105]
	v_mul_f64 v[104:105], v[80:81], s[30:31]
	v_add_f64 v[98:99], v[98:99], v[106:107]
	v_mul_f64 v[106:107], v[82:83], s[42:43]
	v_add_f64 v[100:101], v[100:101], v[110:111]
	v_add_f64 v[102:103], v[102:103], v[112:113]
	v_fma_f64 v[110:111], s[28:29], v[94:95], v[104:105]
	v_fma_f64 v[104:105], v[94:95], s[28:29], -v[104:105]
	v_fma_f64 v[112:113], v[92:93], s[20:21], -v[106:107]
	v_fmac_f64_e32 v[106:107], s[20:21], v[92:93]
	v_add_f64 v[104:105], v[104:105], v[114:115]
	v_mul_f64 v[114:115], v[80:81], s[42:43]
	v_add_f64 v[106:107], v[106:107], v[118:119]
	v_mul_f64 v[118:119], v[82:83], s[40:41]
	v_add_f64 v[110:111], v[110:111], v[116:117]
	v_add_f64 v[112:113], v[112:113], v[120:121]
	v_fma_f64 v[116:117], s[20:21], v[94:95], v[114:115]
	v_fma_f64 v[114:115], v[94:95], s[20:21], -v[114:115]
	v_fma_f64 v[120:121], v[92:93], s[0:1], -v[118:119]
	v_fmac_f64_e32 v[118:119], s[0:1], v[92:93]
	;; [unrolled: 10-line block ×3, first 2 shown]
	v_mul_f64 v[82:83], v[82:83], s[34:35]
	v_add_f64 v[122:123], v[122:123], v[130:131]
	v_mul_f64 v[130:131], v[80:81], s[14:15]
	v_add_f64 v[126:127], v[126:127], v[134:135]
	v_fma_f64 v[134:135], v[92:93], s[24:25], -v[82:83]
	v_mul_f64 v[80:81], v[80:81], s[34:35]
	v_fmac_f64_e32 v[82:83], s[24:25], v[92:93]
	v_add_f64 v[128:129], v[128:129], v[138:139]
	v_fma_f64 v[138:139], s[24:25], v[94:95], v[80:81]
	v_add_f64 v[82:83], v[82:83], v[90:91]
	v_fma_f64 v[80:81], v[94:95], s[24:25], -v[80:81]
	v_add_f64 v[90:91], v[70:71], v[74:75]
	v_add_f64 v[70:71], v[70:71], -v[74:75]
	v_add_f64 v[80:81], v[80:81], v[88:89]
	v_add_f64 v[88:89], v[68:69], v[72:73]
	v_add_f64 v[68:69], v[68:69], -v[72:73]
	v_mul_f64 v[72:73], v[70:71], s[22:23]
	v_fma_f64 v[74:75], v[88:89], s[20:21], -v[72:73]
	v_add_f64 v[74:75], v[74:75], v[86:87]
	v_mul_f64 v[86:87], v[68:69], s[22:23]
	v_fmac_f64_e32 v[72:73], s[20:21], v[88:89]
	v_fma_f64 v[92:93], s[20:21], v[90:91], v[86:87]
	v_add_f64 v[72:73], v[72:73], v[84:85]
	v_fma_f64 v[84:85], v[90:91], s[20:21], -v[86:87]
	v_mul_f64 v[86:87], v[70:71], s[36:37]
	v_add_f64 v[124:125], v[124:125], v[132:133]
	v_fma_f64 v[132:133], s[2:3], v[94:95], v[130:131]
	v_fma_f64 v[130:131], v[94:95], s[2:3], -v[130:131]
	v_fma_f64 v[94:95], v[88:89], s[24:25], -v[86:87]
	v_fmac_f64_e32 v[86:87], s[24:25], v[88:89]
	v_add_f64 v[84:85], v[84:85], v[96:97]
	v_mul_f64 v[96:97], v[68:69], s[36:37]
	v_add_f64 v[86:87], v[86:87], v[98:99]
	v_mul_f64 v[98:99], v[70:71], s[40:41]
	v_add_f64 v[92:93], v[92:93], v[100:101]
	v_add_f64 v[94:95], v[94:95], v[102:103]
	v_fma_f64 v[100:101], s[24:25], v[90:91], v[96:97]
	v_fma_f64 v[96:97], v[90:91], s[24:25], -v[96:97]
	v_fma_f64 v[102:103], v[88:89], s[0:1], -v[98:99]
	v_fmac_f64_e32 v[98:99], s[0:1], v[88:89]
	v_add_f64 v[96:97], v[96:97], v[104:105]
	v_mul_f64 v[104:105], v[68:69], s[40:41]
	v_add_f64 v[98:99], v[98:99], v[106:107]
	v_mul_f64 v[106:107], v[70:71], s[26:27]
	v_add_f64 v[100:101], v[100:101], v[110:111]
	v_add_f64 v[102:103], v[102:103], v[112:113]
	v_fma_f64 v[110:111], s[0:1], v[90:91], v[104:105]
	v_fma_f64 v[104:105], v[90:91], s[0:1], -v[104:105]
	v_fma_f64 v[112:113], v[88:89], s[16:17], -v[106:107]
	v_fmac_f64_e32 v[106:107], s[16:17], v[88:89]
	s_mov_b32 s45, 0x3fcea1e5
	s_mov_b32 s44, s30
	v_add_f64 v[104:105], v[104:105], v[114:115]
	v_mul_f64 v[114:115], v[68:69], s[26:27]
	v_add_f64 v[106:107], v[106:107], v[118:119]
	v_mul_f64 v[118:119], v[70:71], s[44:45]
	s_mov_b32 s47, 0x3fea55e2
	s_mov_b32 s46, s14
	v_add_f64 v[110:111], v[110:111], v[116:117]
	v_add_f64 v[112:113], v[112:113], v[120:121]
	v_fma_f64 v[116:117], s[16:17], v[90:91], v[114:115]
	v_fma_f64 v[114:115], v[90:91], s[16:17], -v[114:115]
	v_fma_f64 v[120:121], v[88:89], s[28:29], -v[118:119]
	v_fmac_f64_e32 v[118:119], s[28:29], v[88:89]
	v_mul_f64 v[70:71], v[70:71], s[46:47]
	v_add_f64 v[114:115], v[114:115], v[122:123]
	v_mul_f64 v[122:123], v[68:69], s[44:45]
	v_add_f64 v[118:119], v[118:119], v[126:127]
	v_fma_f64 v[126:127], v[88:89], s[2:3], -v[70:71]
	v_mul_f64 v[68:69], v[68:69], s[46:47]
	v_fmac_f64_e32 v[70:71], s[2:3], v[88:89]
	v_add_f64 v[120:121], v[120:121], v[128:129]
	v_fma_f64 v[128:129], s[2:3], v[90:91], v[68:69]
	v_add_f64 v[70:71], v[70:71], v[82:83]
	v_fma_f64 v[68:69], v[90:91], s[2:3], -v[68:69]
	v_add_f64 v[82:83], v[62:63], v[66:67]
	v_add_f64 v[62:63], v[62:63], -v[66:67]
	v_add_f64 v[68:69], v[68:69], v[80:81]
	v_add_f64 v[80:81], v[60:61], v[64:65]
	v_add_f64 v[60:61], v[60:61], -v[64:65]
	v_mul_f64 v[64:65], v[62:63], s[34:35]
	v_fma_f64 v[66:67], v[80:81], s[24:25], -v[64:65]
	v_add_f64 v[66:67], v[66:67], v[74:75]
	v_mul_f64 v[74:75], v[60:61], s[34:35]
	v_fmac_f64_e32 v[64:65], s[24:25], v[80:81]
	v_fma_f64 v[88:89], s[24:25], v[82:83], v[74:75]
	v_add_f64 v[64:65], v[64:65], v[72:73]
	v_fma_f64 v[72:73], v[82:83], s[24:25], -v[74:75]
	v_mul_f64 v[74:75], v[62:63], s[38:39]
	v_add_f64 v[116:117], v[116:117], v[124:125]
	v_fma_f64 v[124:125], s[28:29], v[90:91], v[122:123]
	v_fma_f64 v[122:123], v[90:91], s[28:29], -v[122:123]
	v_add_f64 v[72:73], v[72:73], v[84:85]
	v_fma_f64 v[84:85], v[80:81], s[16:17], -v[74:75]
	v_mul_f64 v[90:91], v[60:61], s[38:39]
	v_fmac_f64_e32 v[74:75], s[16:17], v[80:81]
	v_add_f64 v[74:75], v[74:75], v[86:87]
	v_fma_f64 v[86:87], v[82:83], s[16:17], -v[90:91]
	v_add_f64 v[88:89], v[88:89], v[92:93]
	v_fma_f64 v[92:93], s[16:17], v[82:83], v[90:91]
	v_add_f64 v[86:87], v[86:87], v[96:97]
	v_mul_f64 v[90:91], v[62:63], s[14:15]
	v_mul_f64 v[96:97], v[60:61], s[14:15]
	v_add_f64 v[84:85], v[84:85], v[94:95]
	v_add_f64 v[92:93], v[92:93], v[100:101]
	v_fma_f64 v[94:95], v[80:81], s[2:3], -v[90:91]
	v_fma_f64 v[100:101], s[2:3], v[82:83], v[96:97]
	v_fmac_f64_e32 v[90:91], s[2:3], v[80:81]
	v_fma_f64 v[96:97], v[82:83], s[2:3], -v[96:97]
	v_add_f64 v[90:91], v[90:91], v[98:99]
	v_add_f64 v[96:97], v[96:97], v[104:105]
	v_mul_f64 v[98:99], v[62:63], s[44:45]
	v_mul_f64 v[104:105], v[60:61], s[44:45]
	v_add_f64 v[142:143], v[142:143], v[150:151]
	v_add_f64 v[94:95], v[94:95], v[102:103]
	;; [unrolled: 1-line block ×3, first 2 shown]
	v_fma_f64 v[102:103], v[80:81], s[28:29], -v[98:99]
	v_fma_f64 v[110:111], s[28:29], v[82:83], v[104:105]
	v_fmac_f64_e32 v[98:99], s[28:29], v[80:81]
	v_fma_f64 v[104:105], v[82:83], s[28:29], -v[104:105]
	v_add_f64 v[140:141], v[140:141], v[148:149]
	v_add_f64 v[132:133], v[132:133], v[142:143]
	;; [unrolled: 1-line block ×4, first 2 shown]
	v_mul_f64 v[106:107], v[62:63], s[40:41]
	v_mul_f64 v[114:115], v[60:61], s[40:41]
	v_add_f64 v[130:131], v[130:131], v[140:141]
	v_add_f64 v[124:125], v[124:125], v[132:133]
	;; [unrolled: 1-line block ×4, first 2 shown]
	v_fma_f64 v[112:113], v[80:81], s[0:1], -v[106:107]
	v_fma_f64 v[116:117], s[0:1], v[82:83], v[114:115]
	v_mul_f64 v[60:61], v[60:61], s[22:23]
	v_add_f64 v[122:123], v[122:123], v[130:131]
	v_add_f64 v[112:113], v[112:113], v[120:121]
	;; [unrolled: 1-line block ×3, first 2 shown]
	v_fma_f64 v[114:115], v[82:83], s[0:1], -v[114:115]
	v_fma_f64 v[120:121], s[20:21], v[82:83], v[60:61]
	v_fma_f64 v[60:61], v[82:83], s[20:21], -v[60:61]
	v_add_f64 v[124:125], v[2:3], v[58:59]
	v_add_f64 v[2:3], v[2:3], -v[58:59]
	v_fmac_f64_e32 v[106:107], s[0:1], v[80:81]
	v_add_f64 v[114:115], v[114:115], v[122:123]
	v_mul_f64 v[62:63], v[62:63], s[22:23]
	v_add_f64 v[82:83], v[60:61], v[68:69]
	v_add_f64 v[122:123], v[0:1], v[56:57]
	v_mul_f64 v[60:61], v[2:3], s[30:31]
	v_add_f64 v[106:107], v[106:107], v[118:119]
	v_fma_f64 v[118:119], v[80:81], s[20:21], -v[62:63]
	v_fmac_f64_e32 v[62:63], s[20:21], v[80:81]
	v_add_f64 v[0:1], v[0:1], -v[56:57]
	v_fma_f64 v[56:57], v[122:123], s[28:29], -v[60:61]
	v_fmac_f64_e32 v[60:61], s[28:29], v[122:123]
	v_mul_f64 v[68:69], v[2:3], s[40:41]
	v_add_f64 v[80:81], v[62:63], v[70:71]
	v_mul_f64 v[62:63], v[0:1], s[30:31]
	v_add_f64 v[60:61], v[60:61], v[64:65]
	v_fma_f64 v[64:65], v[122:123], s[0:1], -v[68:69]
	v_mul_f64 v[70:71], v[0:1], s[40:41]
	v_add_f64 v[56:57], v[56:57], v[66:67]
	v_fma_f64 v[58:59], s[28:29], v[124:125], v[62:63]
	v_fma_f64 v[62:63], v[124:125], s[28:29], -v[62:63]
	v_add_f64 v[64:65], v[64:65], v[84:85]
	v_fma_f64 v[66:67], s[0:1], v[124:125], v[70:71]
	v_fma_f64 v[70:71], v[124:125], s[0:1], -v[70:71]
	v_mul_f64 v[84:85], v[2:3], s[34:35]
	v_add_f64 v[62:63], v[62:63], v[72:73]
	v_add_f64 v[70:71], v[70:71], v[86:87]
	v_fma_f64 v[72:73], v[122:123], s[24:25], -v[84:85]
	v_mul_f64 v[86:87], v[0:1], s[34:35]
	v_fmac_f64_e32 v[84:85], s[24:25], v[122:123]
	v_add_f64 v[158:159], v[84:85], v[90:91]
	v_fma_f64 v[84:85], v[124:125], s[24:25], -v[86:87]
	v_fmac_f64_e32 v[68:69], s[0:1], v[122:123]
	v_add_f64 v[160:161], v[84:85], v[96:97]
	v_mul_f64 v[84:85], v[2:3], s[46:47]
	v_add_f64 v[68:69], v[68:69], v[74:75]
	v_fma_f64 v[74:75], s[24:25], v[124:125], v[86:87]
	v_fma_f64 v[86:87], v[122:123], s[2:3], -v[84:85]
	v_add_f64 v[162:163], v[86:87], v[102:103]
	v_mul_f64 v[86:87], v[0:1], s[46:47]
	v_fmac_f64_e32 v[84:85], s[2:3], v[122:123]
	v_add_f64 v[166:167], v[84:85], v[98:99]
	v_fma_f64 v[84:85], v[124:125], s[2:3], -v[86:87]
	v_add_f64 v[168:169], v[84:85], v[104:105]
	v_mul_f64 v[84:85], v[2:3], s[22:23]
	v_add_f64 v[144:145], v[144:145], v[152:153]
	v_add_f64 v[58:59], v[58:59], v[88:89]
	v_fma_f64 v[88:89], s[2:3], v[124:125], v[86:87]
	v_fma_f64 v[86:87], v[122:123], s[20:21], -v[84:85]
	v_add_f64 v[146:147], v[146:147], v[154:155]
	v_add_f64 v[134:135], v[134:135], v[144:145]
	;; [unrolled: 1-line block ×3, first 2 shown]
	v_mul_f64 v[86:87], v[0:1], s[22:23]
	v_fmac_f64_e32 v[84:85], s[20:21], v[122:123]
	v_add_f64 v[138:139], v[138:139], v[146:147]
	v_add_f64 v[126:127], v[126:127], v[134:135]
	v_add_f64 v[164:165], v[88:89], v[110:111]
	v_fma_f64 v[88:89], s[20:21], v[124:125], v[86:87]
	v_add_f64 v[174:175], v[84:85], v[106:107]
	v_fma_f64 v[84:85], v[124:125], s[20:21], -v[86:87]
	v_mul_f64 v[2:3], v[2:3], s[38:39]
	v_add_f64 v[128:129], v[128:129], v[138:139]
	v_add_f64 v[118:119], v[118:119], v[126:127]
	;; [unrolled: 1-line block ×4, first 2 shown]
	v_fma_f64 v[84:85], v[122:123], s[16:17], -v[2:3]
	v_mul_f64 v[0:1], v[0:1], s[38:39]
	v_fmac_f64_e32 v[2:3], s[16:17], v[122:123]
	v_add_f64 v[116:117], v[10:11], -v[54:55]
	v_add_f64 v[120:121], v[120:121], v[128:129]
	v_add_f64 v[178:179], v[84:85], v[118:119]
	v_fma_f64 v[84:85], s[16:17], v[124:125], v[0:1]
	v_add_f64 v[188:189], v[2:3], v[80:81]
	v_fma_f64 v[0:1], v[124:125], s[16:17], -v[0:1]
	v_add_f64 v[88:89], v[8:9], v[52:53]
	v_add_f64 v[98:99], v[8:9], -v[52:53]
	v_mul_f64 v[80:81], v[116:117], s[18:19]
	v_add_f64 v[124:125], v[14:15], -v[50:51]
	v_add_f64 v[72:73], v[72:73], v[94:95]
	v_add_f64 v[180:181], v[84:85], v[120:121]
	;; [unrolled: 1-line block ×4, first 2 shown]
	v_mul_f64 v[84:85], v[98:99], s[18:19]
	v_fma_f64 v[0:1], s[0:1], v[88:89], v[80:81]
	v_add_f64 v[94:95], v[12:13], v[48:49]
	v_add_f64 v[106:107], v[12:13], -v[48:49]
	v_mul_f64 v[82:83], v[124:125], s[14:15]
	v_add_f64 v[0:1], v[4:5], v[0:1]
	v_fma_f64 v[2:3], v[130:131], s[0:1], -v[84:85]
	v_add_f64 v[138:139], v[14:15], v[50:51]
	v_mul_f64 v[90:91], v[106:107], s[14:15]
	v_fma_f64 v[86:87], s[2:3], v[94:95], v[82:83]
	v_add_f64 v[2:3], v[6:7], v[2:3]
	v_add_f64 v[0:1], v[86:87], v[0:1]
	v_fma_f64 v[86:87], v[138:139], s[2:3], -v[90:91]
	v_add_f64 v[132:133], v[18:19], -v[46:47]
	v_add_f64 v[2:3], v[86:87], v[2:3]
	v_add_f64 v[102:103], v[16:17], v[44:45]
	v_add_f64 v[118:119], v[16:17], -v[44:45]
	v_mul_f64 v[86:87], v[132:133], s[26:27]
	v_add_f64 v[66:67], v[66:67], v[92:93]
	v_add_f64 v[144:145], v[18:19], v[46:47]
	v_mul_f64 v[96:97], v[118:119], s[26:27]
	v_fma_f64 v[92:93], s[16:17], v[102:103], v[86:87]
	v_add_f64 v[0:1], v[92:93], v[0:1]
	v_fma_f64 v[92:93], v[144:145], s[16:17], -v[96:97]
	v_add_f64 v[140:141], v[22:23], -v[42:43]
	v_add_f64 v[2:3], v[92:93], v[2:3]
	v_add_f64 v[112:113], v[20:21], v[40:41]
	v_add_f64 v[126:127], v[20:21], -v[40:41]
	v_mul_f64 v[92:93], v[140:141], s[22:23]
	v_add_f64 v[74:75], v[74:75], v[100:101]
	v_add_f64 v[148:149], v[22:23], v[42:43]
	v_mul_f64 v[104:105], v[126:127], s[22:23]
	v_fma_f64 v[100:101], s[20:21], v[112:113], v[92:93]
	v_add_f64 v[0:1], v[100:101], v[0:1]
	v_fma_f64 v[100:101], v[148:149], s[20:21], -v[104:105]
	v_add_f64 v[146:147], v[26:27], -v[38:39]
	v_add_f64 v[2:3], v[100:101], v[2:3]
	v_add_f64 v[120:121], v[24:25], v[36:37]
	v_add_f64 v[134:135], v[24:25], -v[36:37]
	v_mul_f64 v[100:101], v[146:147], s[34:35]
	v_add_f64 v[152:153], v[26:27], v[38:39]
	v_mul_f64 v[114:115], v[134:135], s[34:35]
	v_fma_f64 v[110:111], s[24:25], v[120:121], v[100:101]
	v_add_f64 v[0:1], v[110:111], v[0:1]
	v_fma_f64 v[110:111], v[152:153], s[24:25], -v[114:115]
	v_add_f64 v[150:151], v[30:31], -v[34:35]
	v_add_f64 v[2:3], v[110:111], v[2:3]
	v_add_f64 v[128:129], v[28:29], v[32:33]
	v_add_f64 v[142:143], v[28:29], -v[32:33]
	v_mul_f64 v[110:111], v[150:151], s[30:31]
	v_add_f64 v[156:157], v[30:31], v[34:35]
	v_mul_f64 v[122:123], v[142:143], s[30:31]
	v_fma_f64 v[154:155], s[28:29], v[128:129], v[110:111]
	v_add_f64 v[0:1], v[154:155], v[0:1]
	v_fma_f64 v[154:155], v[156:157], s[28:29], -v[122:123]
	v_lshl_add_u64 v[108:109], v[224:225], 0, 39
	v_add_f64 v[2:3], v[154:155], v[2:3]
	v_mul_lo_u16_e32 v154, 13, v224
	v_lshl_add_u32 v187, v154, 4, v185
	v_mul_u32_u24_e32 v227, 13, v108
	s_barrier
	ds_write_b128 v187, v[76:79]
	ds_write_b128 v187, v[56:59] offset:16
	ds_write_b128 v187, v[64:67] offset:32
	;; [unrolled: 1-line block ×12, first 2 shown]
	s_and_saveexec_b64 s[48:49], vcc
	s_cbranch_execz .LBB0_7
; %bb.6:
	v_mul_f64 v[176:177], v[130:131], s[28:29]
	v_mul_f64 v[72:73], v[138:139], s[0:1]
	v_fma_f64 v[178:179], s[44:45], v[98:99], v[176:177]
	v_mul_f64 v[194:195], v[116:117], s[30:31]
	v_mul_f64 v[68:69], v[144:145], s[24:25]
	v_fma_f64 v[74:75], s[18:19], v[106:107], v[72:73]
	v_add_f64 v[178:179], v[6:7], v[178:179]
	v_mul_f64 v[190:191], v[124:125], s[40:41]
	v_fma_f64 v[196:197], s[28:29], v[88:89], v[194:195]
	v_mul_f64 v[64:65], v[148:149], s[2:3]
	v_fma_f64 v[70:71], s[36:37], v[118:119], v[68:69]
	v_add_f64 v[74:75], v[74:75], v[178:179]
	v_mul_f64 v[182:183], v[132:133], s[34:35]
	v_fma_f64 v[192:193], s[0:1], v[94:95], v[190:191]
	v_add_f64 v[196:197], v[4:5], v[196:197]
	;; [unrolled: 3-line block ×6, first 2 shown]
	v_fma_f64 v[56:57], s[26:27], v[142:143], v[60:61]
	v_add_f64 v[58:59], v[58:59], v[66:67]
	v_mul_f64 v[66:67], v[150:151], s[38:39]
	v_fma_f64 v[74:75], s[20:21], v[120:121], v[70:71]
	v_add_f64 v[180:181], v[180:181], v[188:189]
	v_add_f64 v[58:59], v[56:57], v[58:59]
	v_fma_f64 v[56:57], s[16:17], v[128:129], v[66:67]
	v_add_f64 v[74:75], v[74:75], v[180:181]
	v_fmac_f64_e32 v[176:177], s[30:31], v[98:99]
	v_add_f64 v[56:57], v[56:57], v[74:75]
	v_fmac_f64_e32 v[72:73], s[40:41], v[106:107]
	v_add_f64 v[74:75], v[6:7], v[176:177]
	v_fmac_f64_e32 v[68:69], s[34:35], v[118:119]
	v_add_f64 v[72:73], v[72:73], v[74:75]
	v_fmac_f64_e32 v[64:65], s[46:47], v[126:127]
	v_add_f64 v[68:69], v[68:69], v[72:73]
	v_fmac_f64_e32 v[62:63], s[22:23], v[134:135]
	v_add_f64 v[64:65], v[64:65], v[68:69]
	v_fma_f64 v[72:73], v[88:89], s[28:29], -v[194:195]
	v_mul_f64 v[188:189], v[130:131], s[24:25]
	v_add_f64 v[62:63], v[62:63], v[64:65]
	v_fma_f64 v[64:65], v[120:121], s[20:21], -v[70:71]
	v_fma_f64 v[70:71], v[94:95], s[0:1], -v[190:191]
	v_add_f64 v[72:73], v[4:5], v[72:73]
	v_mul_f64 v[180:181], v[138:139], s[16:17]
	v_fma_f64 v[190:191], s[36:37], v[98:99], v[188:189]
	v_mul_f64 v[202:203], v[116:117], s[34:35]
	v_fmac_f64_e32 v[60:61], s[38:39], v[142:143]
	v_fma_f64 v[68:69], v[102:103], s[24:25], -v[182:183]
	v_add_f64 v[70:71], v[70:71], v[72:73]
	v_mul_f64 v[176:177], v[144:145], s[2:3]
	v_fma_f64 v[182:183], s[26:27], v[106:107], v[180:181]
	v_add_f64 v[190:191], v[6:7], v[190:191]
	v_mul_f64 v[198:199], v[124:125], s[38:39]
	v_fma_f64 v[204:205], s[24:25], v[88:89], v[202:203]
	v_add_f64 v[62:63], v[60:61], v[62:63]
	v_fma_f64 v[60:61], v[128:129], s[16:17], -v[66:67]
	v_fma_f64 v[66:67], v[112:113], s[2:3], -v[178:179]
	v_add_f64 v[68:69], v[68:69], v[70:71]
	v_mul_f64 v[72:73], v[148:149], s[28:29]
	v_fma_f64 v[178:179], s[46:47], v[118:119], v[176:177]
	v_add_f64 v[182:183], v[182:183], v[190:191]
	v_mul_f64 v[194:195], v[132:133], s[14:15]
	v_fma_f64 v[200:201], s[16:17], v[94:95], v[198:199]
	v_add_f64 v[204:205], v[4:5], v[204:205]
	v_add_f64 v[66:67], v[66:67], v[68:69]
	v_mul_f64 v[70:71], v[152:153], s[0:1]
	v_fma_f64 v[74:75], s[30:31], v[126:127], v[72:73]
	v_add_f64 v[178:179], v[178:179], v[182:183]
	v_mul_f64 v[190:191], v[140:141], s[44:45]
	v_fma_f64 v[196:197], s[2:3], v[102:103], v[194:195]
	v_add_f64 v[200:201], v[200:201], v[204:205]
	v_add_f64 v[64:65], v[64:65], v[66:67]
	v_mul_f64 v[68:69], v[156:157], s[20:21]
	v_fma_f64 v[66:67], s[18:19], v[134:135], v[70:71]
	v_add_f64 v[74:75], v[74:75], v[178:179]
	v_mul_f64 v[178:179], v[146:147], s[40:41]
	v_fma_f64 v[192:193], s[28:29], v[112:113], v[190:191]
	v_add_f64 v[196:197], v[196:197], v[200:201]
	v_add_f64 v[60:61], v[60:61], v[64:65]
	v_fma_f64 v[64:65], s[42:43], v[142:143], v[68:69]
	v_add_f64 v[66:67], v[66:67], v[74:75]
	v_mul_f64 v[74:75], v[150:151], s[22:23]
	v_fma_f64 v[182:183], s[0:1], v[120:121], v[178:179]
	v_add_f64 v[192:193], v[192:193], v[196:197]
	v_add_f64 v[66:67], v[64:65], v[66:67]
	v_fma_f64 v[64:65], s[20:21], v[128:129], v[74:75]
	v_add_f64 v[182:183], v[182:183], v[192:193]
	v_fmac_f64_e32 v[188:189], s[34:35], v[98:99]
	v_add_f64 v[64:65], v[64:65], v[182:183]
	v_fmac_f64_e32 v[180:181], s[38:39], v[106:107]
	v_add_f64 v[182:183], v[6:7], v[188:189]
	v_fmac_f64_e32 v[176:177], s[14:15], v[118:119]
	v_add_f64 v[180:181], v[180:181], v[182:183]
	v_fmac_f64_e32 v[72:73], s[44:45], v[126:127]
	v_add_f64 v[176:177], v[176:177], v[180:181]
	v_fmac_f64_e32 v[70:71], s[40:41], v[134:135]
	v_add_f64 v[72:73], v[72:73], v[176:177]
	v_fma_f64 v[180:181], v[88:89], s[24:25], -v[202:203]
	v_mul_f64 v[196:197], v[130:131], s[20:21]
	v_add_f64 v[70:71], v[70:71], v[72:73]
	v_fma_f64 v[72:73], v[120:121], s[0:1], -v[178:179]
	v_fma_f64 v[178:179], v[94:95], s[16:17], -v[198:199]
	v_add_f64 v[180:181], v[4:5], v[180:181]
	v_mul_f64 v[192:193], v[138:139], s[24:25]
	v_fma_f64 v[198:199], s[42:43], v[98:99], v[196:197]
	v_mul_f64 v[210:211], v[116:117], s[22:23]
	v_fmac_f64_e32 v[68:69], s[22:23], v[142:143]
	v_fma_f64 v[176:177], v[102:103], s[2:3], -v[194:195]
	v_add_f64 v[178:179], v[178:179], v[180:181]
	v_mul_f64 v[188:189], v[144:145], s[0:1]
	v_fma_f64 v[194:195], s[34:35], v[106:107], v[192:193]
	v_add_f64 v[198:199], v[6:7], v[198:199]
	v_mul_f64 v[206:207], v[124:125], s[36:37]
	v_fma_f64 v[212:213], s[20:21], v[88:89], v[210:211]
	v_add_f64 v[70:71], v[68:69], v[70:71]
	v_fma_f64 v[68:69], v[128:129], s[20:21], -v[74:75]
	v_fma_f64 v[74:75], v[112:113], s[28:29], -v[190:191]
	v_add_f64 v[176:177], v[176:177], v[178:179]
	v_mul_f64 v[180:181], v[148:149], s[16:17]
	v_fma_f64 v[190:191], s[18:19], v[118:119], v[188:189]
	v_add_f64 v[194:195], v[194:195], v[198:199]
	v_mul_f64 v[202:203], v[132:133], s[40:41]
	v_fma_f64 v[208:209], s[24:25], v[94:95], v[206:207]
	v_add_f64 v[212:213], v[4:5], v[212:213]
	v_add_f64 v[74:75], v[74:75], v[176:177]
	v_mul_f64 v[178:179], v[152:153], s[28:29]
	v_fma_f64 v[182:183], s[38:39], v[126:127], v[180:181]
	v_add_f64 v[190:191], v[190:191], v[194:195]
	v_mul_f64 v[198:199], v[140:141], s[26:27]
	v_fma_f64 v[204:205], s[0:1], v[102:103], v[202:203]
	v_add_f64 v[208:209], v[208:209], v[212:213]
	v_add_f64 v[72:73], v[72:73], v[74:75]
	v_mul_f64 v[176:177], v[156:157], s[2:3]
	v_fma_f64 v[74:75], s[30:31], v[134:135], v[178:179]
	v_add_f64 v[182:183], v[182:183], v[190:191]
	v_mul_f64 v[190:191], v[146:147], s[44:45]
	v_fma_f64 v[200:201], s[16:17], v[112:113], v[198:199]
	v_add_f64 v[204:205], v[204:205], v[208:209]
	v_add_f64 v[68:69], v[68:69], v[72:73]
	;; [unrolled: 60-line block ×3, first 2 shown]
	v_fma_f64 v[180:181], s[36:37], v[142:143], v[188:189]
	v_add_f64 v[182:183], v[182:183], v[194:195]
	v_mul_f64 v[194:195], v[150:151], s[34:35]
	v_fma_f64 v[202:203], s[2:3], v[120:121], v[198:199]
	v_add_f64 v[208:209], v[208:209], v[212:213]
	v_add_f64 v[182:183], v[180:181], v[182:183]
	v_fma_f64 v[180:181], s[24:25], v[128:129], v[194:195]
	v_add_f64 v[202:203], v[202:203], v[208:209]
	v_fmac_f64_e32 v[204:205], s[26:27], v[98:99]
	v_add_f64 v[180:181], v[180:181], v[202:203]
	v_fmac_f64_e32 v[200:201], s[30:31], v[106:107]
	;; [unrolled: 2-line block ×4, first 2 shown]
	v_add_f64 v[196:197], v[196:197], v[200:201]
	v_mul_f64 v[76:77], v[88:89], s[0:1]
	v_mul_f64 v[162:163], v[130:131], s[0:1]
	v_fmac_f64_e32 v[190:191], s[14:15], v[134:135]
	v_add_f64 v[192:193], v[192:193], v[196:197]
	v_fma_f64 v[200:201], v[88:89], s[16:17], -v[218:219]
	v_mul_f64 v[130:131], v[130:131], s[2:3]
	v_mul_f64 v[116:117], v[116:117], s[14:15]
	v_add_f64 v[190:191], v[190:191], v[192:193]
	v_fma_f64 v[192:193], v[120:121], s[2:3], -v[198:199]
	v_fma_f64 v[198:199], v[94:95], s[28:29], -v[214:215]
	v_add_f64 v[200:201], v[4:5], v[200:201]
	v_fma_f64 v[202:203], s[46:47], v[98:99], v[130:131]
	v_fma_f64 v[204:205], s[2:3], v[88:89], v[116:117]
	v_fmac_f64_e32 v[130:131], s[14:15], v[98:99]
	v_fma_f64 v[88:89], v[88:89], s[2:3], -v[116:117]
	v_add_f64 v[84:85], v[84:85], v[162:163]
	v_add_f64 v[76:77], v[76:77], -v[80:81]
	v_mul_f64 v[166:167], v[138:139], s[2:3]
	v_fmac_f64_e32 v[188:189], s[34:35], v[142:143]
	v_fma_f64 v[196:197], v[102:103], s[20:21], -v[210:211]
	v_add_f64 v[198:199], v[198:199], v[200:201]
	v_mul_f64 v[138:139], v[138:139], s[20:21]
	v_add_f64 v[202:203], v[6:7], v[202:203]
	v_add_f64 v[204:205], v[4:5], v[204:205]
	;; [unrolled: 1-line block ×8, first 2 shown]
	v_mul_f64 v[168:169], v[144:145], s[16:17]
	v_add_f64 v[190:191], v[188:189], v[190:191]
	v_fma_f64 v[188:189], v[128:129], s[24:25], -v[194:195]
	v_fma_f64 v[194:195], v[112:113], s[0:1], -v[206:207]
	v_add_f64 v[196:197], v[196:197], v[198:199]
	v_mul_f64 v[144:145], v[144:145], s[28:29]
	v_fma_f64 v[200:201], s[42:43], v[106:107], v[138:139]
	v_add_f64 v[6:7], v[6:7], v[14:15]
	v_add_f64 v[4:5], v[4:5], v[12:13]
	;; [unrolled: 1-line block ×3, first 2 shown]
	v_mul_f64 v[196:197], v[148:149], s[24:25]
	v_fma_f64 v[198:199], s[44:45], v[118:119], v[144:145]
	v_add_f64 v[200:201], v[200:201], v[202:203]
	v_mul_f64 v[124:125], v[124:125], s[22:23]
	v_fmac_f64_e32 v[138:139], s[22:23], v[106:107]
	v_add_f64 v[6:7], v[6:7], v[18:19]
	v_add_f64 v[4:5], v[4:5], v[16:17]
	v_mul_f64 v[78:79], v[94:95], s[2:3]
	v_mul_f64 v[170:171], v[148:149], s[20:21]
	;; [unrolled: 1-line block ×4, first 2 shown]
	v_fma_f64 v[148:149], s[34:35], v[126:127], v[196:197]
	v_add_f64 v[198:199], v[198:199], v[200:201]
	v_mul_f64 v[132:133], v[132:133], s[30:31]
	v_fma_f64 v[202:203], s[20:21], v[94:95], v[124:125]
	v_fmac_f64_e32 v[144:145], s[30:31], v[118:119]
	v_add_f64 v[98:99], v[138:139], v[98:99]
	v_fma_f64 v[94:95], v[94:95], s[20:21], -v[124:125]
	v_add_f64 v[6:7], v[6:7], v[22:23]
	v_add_f64 v[4:5], v[4:5], v[20:21]
	v_mul_f64 v[154:155], v[102:103], s[16:17]
	v_add_f64 v[192:193], v[192:193], v[194:195]
	v_fma_f64 v[194:195], s[26:27], v[134:135], v[152:153]
	v_add_f64 v[148:149], v[148:149], v[198:199]
	v_mul_f64 v[140:141], v[140:141], s[36:37]
	v_fma_f64 v[200:201], s[28:29], v[102:103], v[132:133]
	v_fmac_f64_e32 v[196:197], s[36:37], v[126:127]
	v_add_f64 v[98:99], v[144:145], v[98:99]
	v_fma_f64 v[102:103], v[102:103], s[28:29], -v[132:133]
	v_add_f64 v[88:89], v[94:95], v[88:89]
	v_add_f64 v[6:7], v[6:7], v[26:27]
	;; [unrolled: 1-line block ×3, first 2 shown]
	v_mul_f64 v[158:159], v[112:113], s[20:21]
	v_mul_f64 v[174:175], v[156:157], s[28:29]
	;; [unrolled: 1-line block ×3, first 2 shown]
	v_add_f64 v[148:149], v[194:195], v[148:149]
	v_mul_f64 v[194:195], v[146:147], s[38:39]
	v_fma_f64 v[198:199], s[24:25], v[112:113], v[140:141]
	v_fmac_f64_e32 v[152:153], s[38:39], v[134:135]
	v_add_f64 v[98:99], v[196:197], v[98:99]
	v_fma_f64 v[112:113], v[112:113], s[24:25], -v[140:141]
	v_add_f64 v[88:89], v[102:103], v[88:89]
	v_add_f64 v[6:7], v[6:7], v[30:31]
	;; [unrolled: 1-line block ×4, first 2 shown]
	v_fma_f64 v[192:193], s[18:19], v[142:143], v[156:157]
	v_mul_f64 v[150:151], v[150:151], s[40:41]
	v_fmac_f64_e32 v[156:157], s[40:41], v[142:143]
	v_add_f64 v[98:99], v[152:153], v[98:99]
	v_fma_f64 v[106:107], v[120:121], s[16:17], -v[194:195]
	v_add_f64 v[88:89], v[112:113], v[88:89]
	v_add_f64 v[90:91], v[90:91], v[166:167]
	;; [unrolled: 1-line block ×5, first 2 shown]
	v_fma_f64 v[98:99], v[128:129], s[0:1], -v[150:151]
	v_add_f64 v[88:89], v[106:107], v[88:89]
	v_add_f64 v[96:97], v[96:97], v[168:169]
	;; [unrolled: 1-line block ×3, first 2 shown]
	v_add_f64 v[78:79], v[78:79], -v[82:83]
	v_add_f64 v[6:7], v[6:7], v[38:39]
	v_add_f64 v[4:5], v[4:5], v[36:37]
	;; [unrolled: 1-line block ×6, first 2 shown]
	v_add_f64 v[86:87], v[154:155], -v[86:87]
	v_add_f64 v[76:77], v[78:79], v[76:77]
	v_add_f64 v[6:7], v[6:7], v[42:43]
	;; [unrolled: 1-line block ×3, first 2 shown]
	v_mul_f64 v[160:161], v[120:121], s[24:25]
	v_add_f64 v[200:201], v[200:201], v[202:203]
	v_add_f64 v[94:95], v[114:115], v[172:173]
	;; [unrolled: 1-line block ×3, first 2 shown]
	v_add_f64 v[92:93], v[158:159], -v[92:93]
	v_add_f64 v[76:77], v[86:87], v[76:77]
	v_add_f64 v[6:7], v[6:7], v[46:47]
	;; [unrolled: 1-line block ×3, first 2 shown]
	v_mul_f64 v[164:165], v[128:129], s[28:29]
	v_fma_f64 v[146:147], s[16:17], v[120:121], v[194:195]
	v_add_f64 v[198:199], v[198:199], v[200:201]
	v_add_f64 v[88:89], v[122:123], v[174:175]
	;; [unrolled: 1-line block ×3, first 2 shown]
	v_add_f64 v[90:91], v[160:161], -v[100:101]
	v_add_f64 v[76:77], v[92:93], v[76:77]
	v_add_f64 v[6:7], v[6:7], v[50:51]
	;; [unrolled: 1-line block ×4, first 2 shown]
	v_fma_f64 v[192:193], s[0:1], v[128:129], v[150:151]
	v_add_f64 v[146:147], v[146:147], v[198:199]
	v_add_f64 v[84:85], v[88:89], v[84:85]
	v_add_f64 v[88:89], v[164:165], -v[110:111]
	v_add_f64 v[76:77], v[90:91], v[76:77]
	v_add_f64 v[6:7], v[6:7], v[54:55]
	v_add_f64 v[4:5], v[4:5], v[52:53]
	v_lshl_add_u32 v8, v227, 4, v185
	v_add_f64 v[146:147], v[192:193], v[146:147]
	v_add_f64 v[82:83], v[88:89], v[76:77]
	ds_write_b128 v8, v[4:7]
	ds_write_b128 v8, v[82:85] offset:16
	ds_write_b128 v8, v[116:119] offset:32
	;; [unrolled: 1-line block ×12, first 2 shown]
.LBB0_7:
	s_or_b64 exec, exec, s[48:49]
	s_movk_i32 s0, 0x4f
	v_mul_lo_u16_sdwa v4, v224, s0 dst_sel:DWORD dst_unused:UNUSED_PAD src0_sel:BYTE_0 src1_sel:DWORD
	v_mul_lo_u16_sdwa v5, v108, s0 dst_sel:DWORD dst_unused:UNUSED_PAD src0_sel:BYTE_0 src1_sel:DWORD
	v_lshrrev_b16_e32 v126, 10, v4
	v_lshrrev_b16_e32 v124, 10, v5
	v_mul_lo_u16_e32 v4, 13, v126
	v_mul_lo_u16_e32 v5, 13, v124
	v_sub_u16_e32 v127, v224, v4
	v_mov_b32_e32 v24, 6
	v_sub_u16_e32 v125, v108, v5
	s_mov_b64 s[2:3], 0x4e
	v_lshlrev_b32_sdwa v4, v24, v127 dst_sel:DWORD dst_unused:UNUSED_PAD src0_sel:DWORD src1_sel:BYTE_0
	v_lshlrev_b32_sdwa v16, v24, v125 dst_sel:DWORD dst_unused:UNUSED_PAD src0_sel:DWORD src1_sel:BYTE_0
	v_lshl_add_u64 v[114:115], v[224:225], 0, s[2:3]
	s_waitcnt lgkmcnt(0)
	s_barrier
	global_load_dwordx4 v[154:157], v4, s[8:9]
	global_load_dwordx4 v[120:123], v4, s[8:9] offset:16
	global_load_dwordx4 v[88:91], v4, s[8:9] offset:32
	;; [unrolled: 1-line block ×4, first 2 shown]
	global_load_dwordx4 v[68:71], v16, s[8:9]
	ds_read_b128 v[12:15], v184
	ds_read_b128 v[8:11], v184 offset:624
	ds_read_b128 v[28:31], v184 offset:6240
	;; [unrolled: 1-line block ×3, first 2 shown]
	global_load_dwordx4 v[168:171], v16, s[8:9] offset:48
	global_load_dwordx4 v[176:179], v16, s[8:9] offset:32
	v_mul_lo_u16_sdwa v16, v114, s0 dst_sel:DWORD dst_unused:UNUSED_PAD src0_sel:BYTE_0 src1_sel:DWORD
	v_lshrrev_b16_e32 v128, 10, v16
	v_mul_lo_u16_e32 v16, 13, v128
	v_sub_u16_e32 v129, v114, v16
	s_mov_b64 s[2:3], 0x75
	v_lshlrev_b32_sdwa v16, v24, v129 dst_sel:DWORD dst_unused:UNUSED_PAD src0_sel:DWORD src1_sel:BYTE_0
	v_lshl_add_u64 v[112:113], v[224:225], 0, s[2:3]
	global_load_dwordx4 v[164:167], v16, s[8:9] offset:16
	global_load_dwordx4 v[172:175], v16, s[8:9]
	ds_read_b128 v[32:35], v184 offset:12480
	ds_read_b128 v[36:39], v184 offset:13104
	;; [unrolled: 1-line block ×4, first 2 shown]
	global_load_dwordx4 v[188:191], v16, s[8:9] offset:48
	global_load_dwordx4 v[196:199], v16, s[8:9] offset:32
	v_mul_lo_u16_sdwa v16, v112, s0 dst_sel:DWORD dst_unused:UNUSED_PAD src0_sel:BYTE_0 src1_sel:DWORD
	v_lshrrev_b16_e32 v130, 10, v16
	v_mul_lo_u16_e32 v16, 13, v130
	v_sub_u16_e32 v131, v112, v16
	s_mov_b64 s[2:3], 0x9c
	v_lshlrev_b32_sdwa v25, v24, v131 dst_sel:DWORD dst_unused:UNUSED_PAD src0_sel:DWORD src1_sel:BYTE_0
	v_lshl_add_u64 v[110:111], v[224:225], 0, s[2:3]
	global_load_dwordx4 v[180:183], v25, s[8:9] offset:16
	global_load_dwordx4 v[192:195], v25, s[8:9]
	ds_read_b128 v[48:51], v184 offset:9984
	ds_read_b128 v[80:83], v184 offset:10608
	;; [unrolled: 1-line block ×4, first 2 shown]
	global_load_dwordx4 v[204:207], v25, s[8:9] offset:48
	global_load_dwordx4 v[212:215], v25, s[8:9] offset:32
	v_mul_lo_u16_sdwa v25, v110, s0 dst_sel:DWORD dst_unused:UNUSED_PAD src0_sel:BYTE_0 src1_sel:DWORD
	v_lshrrev_b16_e32 v132, 10, v25
	v_mul_lo_u16_e32 v25, 13, v132
	v_sub_u16_e32 v133, v110, v25
	v_lshlrev_b32_sdwa v56, v24, v133 dst_sel:DWORD dst_unused:UNUSED_PAD src0_sel:DWORD src1_sel:BYTE_0
	global_load_dwordx4 v[200:203], v56, s[8:9] offset:16
	global_load_dwordx4 v[208:211], v56, s[8:9]
	ds_read_b128 v[84:87], v184 offset:7488
	ds_read_b128 v[92:95], v184 offset:8112
	ds_read_b128 v[96:99], v184 offset:13728
	ds_read_b128 v[100:103], v184 offset:14352
	ds_read_b128 v[52:55], v184 offset:3120
	ds_read_b128 v[24:27], v184 offset:2496
	global_load_dwordx4 v[216:219], v56, s[8:9] offset:48
	global_load_dwordx4 v[232:235], v56, s[8:9] offset:32
	ds_read_b128 v[104:107], v184 offset:4992
	ds_read_b128 v[138:141], v184 offset:5616
	;; [unrolled: 1-line block ×7, first 2 shown]
	s_mov_b32 s2, 0x134454ff
	s_mov_b32 s3, 0x3fee6f0e
	s_mov_b32 s0, 0x4755a5e
	s_mov_b32 s17, 0xbfee6f0e
	s_mov_b32 s16, s2
	s_mov_b32 s1, 0x3fe2cf23
	s_mov_b32 s14, 0x372fe950
	s_mov_b32 s19, 0xbfe2cf23
	s_mov_b32 s18, s0
	s_mov_b32 s15, 0x3fd3c6ef
	s_waitcnt lgkmcnt(0)
	s_barrier
	s_waitcnt vmcnt(19)
	v_mul_f64 v[72:73], v[52:53], v[156:157]
	v_mul_f64 v[60:61], v[54:55], v[156:157]
	v_accvgpr_write_b32 a78, v154
	v_fmac_f64_e32 v[72:73], v[54:55], v[154:155]
	s_waitcnt vmcnt(18)
	v_mul_f64 v[54:55], v[30:31], v[122:123]
	v_fma_f64 v[52:53], v[52:53], v[154:155], -v[60:61]
	v_accvgpr_write_b32 a79, v155
	v_accvgpr_write_b32 a80, v156
	;; [unrolled: 1-line block ×3, first 2 shown]
	v_fma_f64 v[134:135], v[28:29], v[120:121], -v[54:55]
	v_mul_f64 v[154:155], v[28:29], v[122:123]
	s_waitcnt vmcnt(17)
	v_mul_f64 v[28:29], v[58:59], v[90:91]
	v_fma_f64 v[156:157], v[56:57], v[88:89], -v[28:29]
	s_waitcnt vmcnt(16)
	v_mul_f64 v[28:29], v[34:35], v[76:77]
	v_fma_f64 v[158:159], v[32:33], v[74:75], -v[28:29]
	s_waitcnt vmcnt(14)
	v_mul_f64 v[28:29], v[42:43], v[70:71]
	v_mul_f64 v[56:57], v[56:57], v[90:91]
	v_fma_f64 v[54:55], v[40:41], v[68:69], -v[28:29]
	v_mul_f64 v[28:29], v[6:7], v[66:67]
	v_fmac_f64_e32 v[56:57], v[58:59], v[88:89]
	v_mul_f64 v[60:61], v[40:41], v[70:71]
	v_accvgpr_write_b32 a62, v68
	v_fma_f64 v[58:59], v[4:5], v[64:65], -v[28:29]
	v_mul_f64 v[62:63], v[4:5], v[66:67]
	s_waitcnt vmcnt(12)
	v_mul_f64 v[4:5], v[50:51], v[178:179]
	v_accvgpr_write_b32 a63, v69
	v_accvgpr_write_b32 a64, v70
	;; [unrolled: 1-line block ×3, first 2 shown]
	v_fmac_f64_e32 v[60:61], v[42:43], v[68:69]
	v_fma_f64 v[68:69], v[48:49], v[176:177], -v[4:5]
	v_mul_f64 v[4:5], v[38:39], v[170:171]
	v_accvgpr_write_b32 a74, v120
	v_fma_f64 v[162:163], v[36:37], v[168:169], -v[4:5]
	s_waitcnt vmcnt(10)
	v_mul_f64 v[4:5], v[46:47], v[174:175]
	s_waitcnt vmcnt(4)
	v_mul_f64 v[28:29], v[118:119], v[214:215]
	v_accvgpr_write_b32 a75, v121
	v_accvgpr_write_b32 a76, v122
	v_accvgpr_write_b32 a77, v123
	v_fmac_f64_e32 v[154:155], v[30:31], v[120:121]
	v_mul_f64 v[160:161], v[32:33], v[76:77]
	v_accvgpr_write_b32 a66, v74
	v_fma_f64 v[70:71], v[44:45], v[172:173], -v[4:5]
	v_mul_f64 v[4:5], v[86:87], v[166:167]
	v_fma_f64 v[120:121], v[116:117], v[212:213], -v[28:29]
	v_mul_f64 v[28:29], v[102:103], v[206:207]
	v_accvgpr_write_b32 a67, v75
	v_accvgpr_write_b32 a68, v76
	;; [unrolled: 1-line block ×3, first 2 shown]
	v_fmac_f64_e32 v[160:161], v[34:35], v[74:75]
	v_fma_f64 v[74:75], v[84:85], v[164:165], -v[4:5]
	v_mul_f64 v[4:5], v[82:83], v[198:199]
	v_mul_f64 v[116:117], v[116:117], v[214:215]
	v_fma_f64 v[122:123], v[100:101], v[204:205], -v[28:29]
	s_waitcnt vmcnt(2)
	v_mul_f64 v[28:29], v[140:141], v[210:211]
	v_accvgpr_write_b32 a70, v88
	v_mul_f64 v[78:79], v[84:85], v[166:167]
	v_fma_f64 v[84:85], v[80:81], v[196:197], -v[4:5]
	v_mul_f64 v[4:5], v[98:99], v[190:191]
	v_fmac_f64_e32 v[116:117], v[118:119], v[212:213]
	v_mul_f64 v[118:119], v[100:101], v[206:207]
	v_fma_f64 v[100:101], v[138:139], v[208:209], -v[28:29]
	v_mul_f64 v[28:29], v[144:145], v[202:203]
	v_accvgpr_write_b32 a71, v89
	v_accvgpr_write_b32 a72, v90
	;; [unrolled: 1-line block ×3, first 2 shown]
	v_fma_f64 v[88:89], v[96:97], v[188:189], -v[4:5]
	v_mul_f64 v[4:5], v[106:107], v[194:195]
	v_fmac_f64_e32 v[118:119], v[102:103], v[204:205]
	v_fma_f64 v[102:103], v[142:143], v[200:201], -v[28:29]
	s_waitcnt vmcnt(0)
	v_mul_f64 v[28:29], v[148:149], v[234:235]
	v_fmac_f64_e32 v[78:79], v[86:87], v[164:165]
	v_fma_f64 v[86:87], v[104:105], v[192:193], -v[4:5]
	v_mul_f64 v[4:5], v[104:105], v[194:195]
	v_fma_f64 v[104:105], v[146:147], v[232:233], -v[28:29]
	v_mul_f64 v[28:29], v[152:153], v[218:219]
	v_fmac_f64_e32 v[4:5], v[106:107], v[192:193]
	v_fma_f64 v[106:107], v[150:151], v[216:217], -v[28:29]
	v_add_f64 v[28:29], v[12:13], v[52:53]
	v_add_f64 v[28:29], v[28:29], v[134:135]
	;; [unrolled: 1-line block ×3, first 2 shown]
	v_accvgpr_write_b32 a58, v64
	v_add_f64 v[32:33], v[28:29], v[158:159]
	v_add_f64 v[28:29], v[134:135], v[156:157]
	v_accvgpr_write_b32 a59, v65
	v_accvgpr_write_b32 a60, v66
	v_accvgpr_write_b32 a61, v67
	v_mul_f64 v[66:67], v[36:37], v[170:171]
	v_fma_f64 v[28:29], -0.5, v[28:29], v[12:13]
	v_add_f64 v[30:31], v[72:73], -v[160:161]
	v_fmac_f64_e32 v[66:67], v[38:39], v[168:169]
	v_fma_f64 v[36:37], s[2:3], v[30:31], v[28:29]
	v_add_f64 v[34:35], v[154:155], -v[56:57]
	v_add_f64 v[38:39], v[52:53], -v[134:135]
	v_add_f64 v[40:41], v[158:159], -v[156:157]
	v_fmac_f64_e32 v[28:29], s[16:17], v[30:31]
	v_fmac_f64_e32 v[36:37], s[0:1], v[34:35]
	v_add_f64 v[38:39], v[38:39], v[40:41]
	v_fmac_f64_e32 v[28:29], s[18:19], v[34:35]
	v_fmac_f64_e32 v[36:37], s[14:15], v[38:39]
	;; [unrolled: 1-line block ×3, first 2 shown]
	v_add_f64 v[38:39], v[52:53], v[158:159]
	v_fmac_f64_e32 v[12:13], -0.5, v[38:39]
	v_fma_f64 v[40:41], s[16:17], v[34:35], v[12:13]
	v_fmac_f64_e32 v[12:13], s[2:3], v[34:35]
	v_fmac_f64_e32 v[40:41], s[0:1], v[30:31]
	;; [unrolled: 1-line block ×3, first 2 shown]
	v_add_f64 v[30:31], v[14:15], v[72:73]
	v_add_f64 v[30:31], v[30:31], v[154:155]
	;; [unrolled: 1-line block ×3, first 2 shown]
	v_add_f64 v[38:39], v[134:135], -v[52:53]
	v_add_f64 v[42:43], v[156:157], -v[158:159]
	v_add_f64 v[34:35], v[30:31], v[160:161]
	v_add_f64 v[30:31], v[154:155], v[56:57]
	v_mul_f64 v[76:77], v[44:45], v[174:175]
	v_add_f64 v[38:39], v[38:39], v[42:43]
	v_fma_f64 v[30:31], -0.5, v[30:31], v[14:15]
	v_add_f64 v[44:45], v[52:53], -v[158:159]
	v_fmac_f64_e32 v[62:63], v[6:7], v[64:65]
	v_mul_f64 v[64:65], v[48:49], v[178:179]
	v_fmac_f64_e32 v[76:77], v[46:47], v[172:173]
	v_fmac_f64_e32 v[40:41], s[14:15], v[38:39]
	;; [unrolled: 1-line block ×3, first 2 shown]
	v_fma_f64 v[38:39], s[16:17], v[44:45], v[30:31]
	v_add_f64 v[46:47], v[134:135], -v[156:157]
	v_add_f64 v[42:43], v[72:73], -v[154:155]
	;; [unrolled: 1-line block ×3, first 2 shown]
	v_fmac_f64_e32 v[30:31], s[2:3], v[44:45]
	v_fmac_f64_e32 v[38:39], s[18:19], v[46:47]
	v_add_f64 v[42:43], v[42:43], v[48:49]
	v_fmac_f64_e32 v[30:31], s[0:1], v[46:47]
	v_fmac_f64_e32 v[38:39], s[14:15], v[42:43]
	;; [unrolled: 1-line block ×3, first 2 shown]
	v_add_f64 v[42:43], v[72:73], v[160:161]
	v_fmac_f64_e32 v[14:15], -0.5, v[42:43]
	v_fma_f64 v[42:43], s[2:3], v[46:47], v[14:15]
	v_fmac_f64_e32 v[14:15], s[16:17], v[46:47]
	v_fmac_f64_e32 v[42:43], s[18:19], v[44:45]
	;; [unrolled: 1-line block ×3, first 2 shown]
	v_add_f64 v[44:45], v[8:9], v[54:55]
	v_fmac_f64_e32 v[64:65], v[50:51], v[176:177]
	v_add_f64 v[48:49], v[154:155], -v[72:73]
	v_add_f64 v[50:51], v[56:57], -v[160:161]
	v_add_f64 v[44:45], v[44:45], v[58:59]
	v_add_f64 v[48:49], v[48:49], v[50:51]
	;; [unrolled: 1-line block ×3, first 2 shown]
	v_fmac_f64_e32 v[42:43], s[14:15], v[48:49]
	v_fmac_f64_e32 v[14:15], s[14:15], v[48:49]
	v_add_f64 v[48:49], v[44:45], v[162:163]
	v_add_f64 v[44:45], v[58:59], v[68:69]
	v_fma_f64 v[44:45], -0.5, v[44:45], v[8:9]
	v_add_f64 v[46:47], v[60:61], -v[66:67]
	v_fma_f64 v[52:53], s[2:3], v[46:47], v[44:45]
	v_add_f64 v[50:51], v[62:63], -v[64:65]
	v_add_f64 v[56:57], v[54:55], -v[58:59]
	;; [unrolled: 1-line block ×3, first 2 shown]
	v_fmac_f64_e32 v[44:45], s[16:17], v[46:47]
	v_fmac_f64_e32 v[52:53], s[0:1], v[50:51]
	v_add_f64 v[56:57], v[56:57], v[72:73]
	v_fmac_f64_e32 v[44:45], s[18:19], v[50:51]
	v_fmac_f64_e32 v[52:53], s[14:15], v[56:57]
	;; [unrolled: 1-line block ×3, first 2 shown]
	v_add_f64 v[56:57], v[54:55], v[162:163]
	v_fmac_f64_e32 v[8:9], -0.5, v[56:57]
	v_fma_f64 v[56:57], s[16:17], v[50:51], v[8:9]
	v_fmac_f64_e32 v[8:9], s[2:3], v[50:51]
	v_fmac_f64_e32 v[56:57], s[0:1], v[46:47]
	;; [unrolled: 1-line block ×3, first 2 shown]
	v_add_f64 v[46:47], v[10:11], v[60:61]
	v_add_f64 v[46:47], v[46:47], v[62:63]
	v_add_f64 v[72:73], v[58:59], -v[54:55]
	v_add_f64 v[134:135], v[68:69], -v[162:163]
	v_add_f64 v[46:47], v[46:47], v[64:65]
	v_add_f64 v[72:73], v[72:73], v[134:135]
	;; [unrolled: 1-line block ×4, first 2 shown]
	v_fmac_f64_e32 v[56:57], s[14:15], v[72:73]
	v_fmac_f64_e32 v[8:9], s[14:15], v[72:73]
	v_fma_f64 v[46:47], -0.5, v[46:47], v[10:11]
	v_add_f64 v[72:73], v[54:55], -v[162:163]
	v_fma_f64 v[54:55], s[16:17], v[72:73], v[46:47]
	v_add_f64 v[68:69], v[58:59], -v[68:69]
	v_add_f64 v[58:59], v[60:61], -v[62:63]
	;; [unrolled: 1-line block ×3, first 2 shown]
	v_fmac_f64_e32 v[46:47], s[2:3], v[72:73]
	v_fmac_f64_e32 v[54:55], s[18:19], v[68:69]
	v_add_f64 v[58:59], v[58:59], v[134:135]
	v_fmac_f64_e32 v[46:47], s[0:1], v[68:69]
	v_fmac_f64_e32 v[54:55], s[14:15], v[58:59]
	v_fmac_f64_e32 v[46:47], s[14:15], v[58:59]
	v_add_f64 v[58:59], v[60:61], v[66:67]
	v_fmac_f64_e32 v[10:11], -0.5, v[58:59]
	v_fma_f64 v[58:59], s[2:3], v[68:69], v[10:11]
	v_add_f64 v[60:61], v[62:63], -v[60:61]
	v_add_f64 v[62:63], v[64:65], -v[66:67]
	v_fmac_f64_e32 v[10:11], s[16:17], v[68:69]
	v_fmac_f64_e32 v[58:59], s[18:19], v[72:73]
	v_add_f64 v[60:61], v[60:61], v[62:63]
	v_fmac_f64_e32 v[10:11], s[0:1], v[72:73]
	v_fmac_f64_e32 v[58:59], s[14:15], v[60:61]
	;; [unrolled: 1-line block ×3, first 2 shown]
	v_add_f64 v[60:61], v[20:21], v[70:71]
	v_mul_f64 v[80:81], v[80:81], v[198:199]
	v_add_f64 v[60:61], v[60:61], v[74:75]
	v_fmac_f64_e32 v[80:81], v[82:83], v[196:197]
	v_mul_f64 v[82:83], v[96:97], v[190:191]
	v_add_f64 v[60:61], v[60:61], v[84:85]
	v_fmac_f64_e32 v[82:83], v[98:99], v[188:189]
	v_add_f64 v[64:65], v[60:61], v[88:89]
	v_add_f64 v[60:61], v[74:75], v[84:85]
	v_fma_f64 v[60:61], -0.5, v[60:61], v[20:21]
	v_add_f64 v[62:63], v[76:77], -v[82:83]
	v_fma_f64 v[68:69], s[2:3], v[62:63], v[60:61]
	v_add_f64 v[66:67], v[78:79], -v[80:81]
	v_add_f64 v[72:73], v[70:71], -v[74:75]
	;; [unrolled: 1-line block ×3, first 2 shown]
	v_fmac_f64_e32 v[60:61], s[16:17], v[62:63]
	v_fmac_f64_e32 v[68:69], s[0:1], v[66:67]
	v_add_f64 v[72:73], v[72:73], v[134:135]
	v_fmac_f64_e32 v[60:61], s[18:19], v[66:67]
	v_fmac_f64_e32 v[68:69], s[14:15], v[72:73]
	;; [unrolled: 1-line block ×3, first 2 shown]
	v_add_f64 v[72:73], v[70:71], v[88:89]
	v_fmac_f64_e32 v[20:21], -0.5, v[72:73]
	v_fma_f64 v[72:73], s[16:17], v[66:67], v[20:21]
	v_fmac_f64_e32 v[20:21], s[2:3], v[66:67]
	v_fmac_f64_e32 v[72:73], s[0:1], v[62:63]
	;; [unrolled: 1-line block ×3, first 2 shown]
	v_add_f64 v[62:63], v[22:23], v[76:77]
	v_add_f64 v[62:63], v[62:63], v[78:79]
	v_mul_f64 v[6:7], v[94:95], v[182:183]
	v_add_f64 v[62:63], v[62:63], v[80:81]
	v_fma_f64 v[90:91], v[92:93], v[180:181], -v[6:7]
	v_mul_f64 v[6:7], v[92:93], v[182:183]
	v_mul_f64 v[92:93], v[138:139], v[210:211]
	v_add_f64 v[134:135], v[74:75], -v[70:71]
	v_add_f64 v[138:139], v[84:85], -v[88:89]
	v_add_f64 v[66:67], v[62:63], v[82:83]
	v_add_f64 v[62:63], v[78:79], v[80:81]
	;; [unrolled: 1-line block ×3, first 2 shown]
	v_fma_f64 v[62:63], -0.5, v[62:63], v[22:23]
	v_add_f64 v[88:89], v[70:71], -v[88:89]
	v_fmac_f64_e32 v[72:73], s[14:15], v[134:135]
	v_fmac_f64_e32 v[20:21], s[14:15], v[134:135]
	v_fma_f64 v[70:71], s[16:17], v[88:89], v[62:63]
	v_add_f64 v[84:85], v[74:75], -v[84:85]
	v_add_f64 v[74:75], v[76:77], -v[78:79]
	;; [unrolled: 1-line block ×3, first 2 shown]
	v_fmac_f64_e32 v[62:63], s[2:3], v[88:89]
	v_fmac_f64_e32 v[70:71], s[18:19], v[84:85]
	v_add_f64 v[74:75], v[74:75], v[134:135]
	v_fmac_f64_e32 v[62:63], s[0:1], v[84:85]
	v_fmac_f64_e32 v[70:71], s[14:15], v[74:75]
	;; [unrolled: 1-line block ×3, first 2 shown]
	v_add_f64 v[74:75], v[76:77], v[82:83]
	v_fmac_f64_e32 v[22:23], -0.5, v[74:75]
	v_fma_f64 v[74:75], s[2:3], v[84:85], v[22:23]
	v_add_f64 v[76:77], v[78:79], -v[76:77]
	v_add_f64 v[78:79], v[80:81], -v[82:83]
	v_fmac_f64_e32 v[22:23], s[16:17], v[84:85]
	v_fmac_f64_e32 v[74:75], s[18:19], v[88:89]
	v_add_f64 v[76:77], v[76:77], v[78:79]
	v_fmac_f64_e32 v[22:23], s[0:1], v[88:89]
	v_fmac_f64_e32 v[74:75], s[14:15], v[76:77]
	;; [unrolled: 1-line block ×3, first 2 shown]
	v_add_f64 v[76:77], v[16:17], v[86:87]
	v_add_f64 v[76:77], v[76:77], v[90:91]
	;; [unrolled: 1-line block ×5, first 2 shown]
	v_fmac_f64_e32 v[6:7], v[94:95], v[180:181]
	v_fma_f64 v[76:77], -0.5, v[76:77], v[16:17]
	v_add_f64 v[78:79], v[4:5], -v[118:119]
	v_fma_f64 v[84:85], s[2:3], v[78:79], v[76:77]
	v_add_f64 v[82:83], v[6:7], -v[116:117]
	v_add_f64 v[88:89], v[86:87], -v[90:91]
	v_add_f64 v[134:135], v[122:123], -v[120:121]
	v_fmac_f64_e32 v[76:77], s[16:17], v[78:79]
	v_fmac_f64_e32 v[84:85], s[0:1], v[82:83]
	v_add_f64 v[88:89], v[88:89], v[134:135]
	v_fmac_f64_e32 v[76:77], s[18:19], v[82:83]
	v_fmac_f64_e32 v[84:85], s[14:15], v[88:89]
	;; [unrolled: 1-line block ×3, first 2 shown]
	v_add_f64 v[88:89], v[86:87], v[122:123]
	v_fmac_f64_e32 v[16:17], -0.5, v[88:89]
	v_fma_f64 v[88:89], s[16:17], v[82:83], v[16:17]
	v_fmac_f64_e32 v[16:17], s[2:3], v[82:83]
	v_fmac_f64_e32 v[88:89], s[0:1], v[78:79]
	;; [unrolled: 1-line block ×3, first 2 shown]
	v_add_f64 v[78:79], v[18:19], v[4:5]
	v_add_f64 v[78:79], v[78:79], v[6:7]
	;; [unrolled: 1-line block ×3, first 2 shown]
	v_add_f64 v[134:135], v[90:91], -v[86:87]
	v_add_f64 v[138:139], v[120:121], -v[122:123]
	v_add_f64 v[82:83], v[78:79], v[118:119]
	v_add_f64 v[78:79], v[6:7], v[116:117]
	;; [unrolled: 1-line block ×3, first 2 shown]
	v_fma_f64 v[78:79], -0.5, v[78:79], v[18:19]
	v_add_f64 v[122:123], v[86:87], -v[122:123]
	v_fmac_f64_e32 v[88:89], s[14:15], v[134:135]
	v_fmac_f64_e32 v[16:17], s[14:15], v[134:135]
	v_fma_f64 v[86:87], s[16:17], v[122:123], v[78:79]
	v_add_f64 v[120:121], v[90:91], -v[120:121]
	v_add_f64 v[90:91], v[4:5], -v[6:7]
	;; [unrolled: 1-line block ×3, first 2 shown]
	v_fmac_f64_e32 v[78:79], s[2:3], v[122:123]
	v_fmac_f64_e32 v[86:87], s[18:19], v[120:121]
	v_add_f64 v[90:91], v[90:91], v[134:135]
	v_fmac_f64_e32 v[78:79], s[0:1], v[120:121]
	v_fmac_f64_e32 v[86:87], s[14:15], v[90:91]
	;; [unrolled: 1-line block ×3, first 2 shown]
	v_add_f64 v[90:91], v[4:5], v[118:119]
	v_fmac_f64_e32 v[18:19], -0.5, v[90:91]
	v_fma_f64 v[90:91], s[2:3], v[120:121], v[18:19]
	v_add_f64 v[4:5], v[6:7], -v[4:5]
	v_add_f64 v[6:7], v[116:117], -v[118:119]
	v_fmac_f64_e32 v[18:19], s[16:17], v[120:121]
	v_fmac_f64_e32 v[90:91], s[18:19], v[122:123]
	v_add_f64 v[4:5], v[4:5], v[6:7]
	v_fmac_f64_e32 v[18:19], s[0:1], v[122:123]
	v_fmac_f64_e32 v[90:91], s[14:15], v[4:5]
	;; [unrolled: 1-line block ×3, first 2 shown]
	v_add_f64 v[4:5], v[24:25], v[100:101]
	v_add_f64 v[4:5], v[4:5], v[102:103]
	v_mul_f64 v[98:99], v[150:151], v[218:219]
	v_add_f64 v[4:5], v[4:5], v[104:105]
	v_fmac_f64_e32 v[92:93], v[140:141], v[208:209]
	v_mul_f64 v[94:95], v[142:143], v[202:203]
	v_mul_f64 v[96:97], v[146:147], v[234:235]
	v_fmac_f64_e32 v[98:99], v[152:153], v[216:217]
	v_add_f64 v[116:117], v[4:5], v[106:107]
	v_add_f64 v[4:5], v[102:103], v[104:105]
	v_fmac_f64_e32 v[94:95], v[144:145], v[200:201]
	v_fmac_f64_e32 v[96:97], v[148:149], v[232:233]
	v_fma_f64 v[4:5], -0.5, v[4:5], v[24:25]
	v_add_f64 v[6:7], v[92:93], -v[98:99]
	v_fma_f64 v[120:121], s[2:3], v[6:7], v[4:5]
	v_add_f64 v[118:119], v[94:95], -v[96:97]
	v_add_f64 v[122:123], v[100:101], -v[102:103]
	;; [unrolled: 1-line block ×3, first 2 shown]
	v_fmac_f64_e32 v[4:5], s[16:17], v[6:7]
	v_fmac_f64_e32 v[120:121], s[0:1], v[118:119]
	v_add_f64 v[122:123], v[122:123], v[134:135]
	v_fmac_f64_e32 v[4:5], s[18:19], v[118:119]
	v_fmac_f64_e32 v[120:121], s[14:15], v[122:123]
	;; [unrolled: 1-line block ×3, first 2 shown]
	v_add_f64 v[122:123], v[100:101], v[106:107]
	v_fmac_f64_e32 v[24:25], -0.5, v[122:123]
	v_fma_f64 v[138:139], s[16:17], v[118:119], v[24:25]
	v_fmac_f64_e32 v[24:25], s[2:3], v[118:119]
	v_fmac_f64_e32 v[138:139], s[0:1], v[6:7]
	;; [unrolled: 1-line block ×3, first 2 shown]
	v_add_f64 v[6:7], v[26:27], v[92:93]
	v_add_f64 v[6:7], v[6:7], v[94:95]
	;; [unrolled: 1-line block ×3, first 2 shown]
	v_add_f64 v[122:123], v[102:103], -v[100:101]
	v_add_f64 v[134:135], v[104:105], -v[106:107]
	v_add_f64 v[118:119], v[6:7], v[98:99]
	v_add_f64 v[6:7], v[94:95], v[96:97]
	;; [unrolled: 1-line block ×3, first 2 shown]
	v_fma_f64 v[6:7], -0.5, v[6:7], v[26:27]
	v_add_f64 v[100:101], v[100:101], -v[106:107]
	v_fmac_f64_e32 v[138:139], s[14:15], v[122:123]
	v_fmac_f64_e32 v[24:25], s[14:15], v[122:123]
	v_fma_f64 v[122:123], s[16:17], v[100:101], v[6:7]
	v_add_f64 v[102:103], v[102:103], -v[104:105]
	v_add_f64 v[104:105], v[92:93], -v[94:95]
	;; [unrolled: 1-line block ×3, first 2 shown]
	v_fmac_f64_e32 v[6:7], s[2:3], v[100:101]
	v_fmac_f64_e32 v[122:123], s[18:19], v[102:103]
	v_add_f64 v[104:105], v[104:105], v[106:107]
	v_fmac_f64_e32 v[6:7], s[0:1], v[102:103]
	v_fmac_f64_e32 v[122:123], s[14:15], v[104:105]
	v_fmac_f64_e32 v[6:7], s[14:15], v[104:105]
	v_add_f64 v[104:105], v[92:93], v[98:99]
	v_fmac_f64_e32 v[26:27], -0.5, v[104:105]
	v_fma_f64 v[140:141], s[2:3], v[102:103], v[26:27]
	v_add_f64 v[92:93], v[94:95], -v[92:93]
	v_add_f64 v[94:95], v[96:97], -v[98:99]
	v_fmac_f64_e32 v[26:27], s[16:17], v[102:103]
	v_fmac_f64_e32 v[140:141], s[18:19], v[100:101]
	v_add_f64 v[92:93], v[92:93], v[94:95]
	v_fmac_f64_e32 v[26:27], s[0:1], v[100:101]
	v_fmac_f64_e32 v[140:141], s[14:15], v[92:93]
	;; [unrolled: 1-line block ×3, first 2 shown]
	v_mul_u32_u24_e32 v92, 0x41, v126
	v_add_u32_sdwa v92, v92, v127 dst_sel:DWORD dst_unused:UNUSED_PAD src0_sel:DWORD src1_sel:BYTE_0
	v_lshl_add_u32 v92, v92, 4, v185
	ds_write_b128 v92, v[32:35]
	ds_write_b128 v92, v[36:39] offset:208
	ds_write_b128 v92, v[40:43] offset:416
	;; [unrolled: 1-line block ×3, first 2 shown]
	v_mul_u32_u24_e32 v12, 0x41, v124
	v_add_u32_sdwa v12, v12, v125 dst_sel:DWORD dst_unused:UNUSED_PAD src0_sel:DWORD src1_sel:BYTE_0
	v_lshl_add_u32 v12, v12, 4, v185
	scratch_store_dword off, v92, off       ; 4-byte Folded Spill
	ds_write_b128 v92, v[28:31] offset:832
	ds_write_b128 v12, v[48:51]
	ds_write_b128 v12, v[52:55] offset:208
	ds_write_b128 v12, v[56:59] offset:416
	;; [unrolled: 1-line block ×3, first 2 shown]
	v_mul_u32_u24_e32 v8, 0x41, v128
	v_add_u32_sdwa v8, v8, v129 dst_sel:DWORD dst_unused:UNUSED_PAD src0_sel:DWORD src1_sel:BYTE_0
	v_lshl_add_u32 v8, v8, 4, v185
	scratch_store_dword off, v12, off offset:4 ; 4-byte Folded Spill
	ds_write_b128 v12, v[44:47] offset:832
	ds_write_b128 v8, v[64:67]
	ds_write_b128 v8, v[68:71] offset:208
	ds_write_b128 v8, v[72:75] offset:416
	;; [unrolled: 1-line block ×3, first 2 shown]
	scratch_store_dword off, v8, off offset:8 ; 4-byte Folded Spill
	ds_write_b128 v8, v[60:63] offset:832
	v_mul_u32_u24_e32 v8, 0x41, v130
	v_add_u32_sdwa v8, v8, v131 dst_sel:DWORD dst_unused:UNUSED_PAD src0_sel:DWORD src1_sel:BYTE_0
	v_lshl_add_u32 v8, v8, 4, v185
	ds_write_b128 v8, v[80:83]
	ds_write_b128 v8, v[84:87] offset:208
	ds_write_b128 v8, v[88:91] offset:416
	;; [unrolled: 1-line block ×3, first 2 shown]
	scratch_store_dword off, v8, off offset:12 ; 4-byte Folded Spill
	ds_write_b128 v8, v[76:79] offset:832
	v_mul_u32_u24_e32 v8, 0x41, v132
	v_add_u32_sdwa v8, v8, v133 dst_sel:DWORD dst_unused:UNUSED_PAD src0_sel:DWORD src1_sel:BYTE_0
	v_lshl_add_u32 v8, v8, 4, v185
	ds_write_b128 v8, v[116:119]
	ds_write_b128 v8, v[120:123] offset:208
	ds_write_b128 v8, v[138:141] offset:416
	;; [unrolled: 1-line block ×3, first 2 shown]
	scratch_store_dword off, v8, off offset:16 ; 4-byte Folded Spill
	ds_write_b128 v8, v[4:7] offset:832
	s_waitcnt lgkmcnt(0)
	s_barrier
	ds_read_b128 v[40:43], v184
	ds_read_b128 v[36:39], v184 offset:624
	ds_read_b128 v[100:103], v184 offset:5200
	;; [unrolled: 1-line block ×23, first 2 shown]
	v_accvgpr_write_b32 a94, v176
	v_accvgpr_write_b32 a86, v168
	;; [unrolled: 1-line block ×56, first 2 shown]
	v_cmp_gt_u16_e64 s[0:1], 13, v224
                                        ; implicit-def: $vgpr52_vgpr53
	s_and_saveexec_b64 s[2:3], s[0:1]
	s_cbranch_execz .LBB0_9
; %bb.8:
	ds_read_b128 v[4:7], v184 offset:4992
	ds_read_b128 v[0:3], v184 offset:10192
	;; [unrolled: 1-line block ×3, first 2 shown]
.LBB0_9:
	s_or_b64 exec, exec, s[2:3]
	s_movk_i32 s2, 0xffe6
	v_lshlrev_b64 v[116:117], 5, v[224:225]
	s_mov_b32 s3, -1
	v_lshl_add_u64 v[118:119], s[8:9], 0, v[116:117]
	v_lshl_add_u64 v[116:117], v[224:225], 0, s[2:3]
	v_cmp_gt_u16_e64 s[2:3], 26, v224
	global_load_dwordx4 v[138:141], v[118:119], off offset:848
	global_load_dwordx4 v[142:145], v[118:119], off offset:832
	v_cndmask_b32_e64 v117, v117, v109, s[2:3]
	v_cndmask_b32_e64 v116, v116, v108, s[2:3]
	s_mov_b64 s[2:3], 0xea
	v_lshl_add_u64 v[124:125], v[224:225], 0, s[2:3]
	s_movk_i32 s2, 0xfd
	v_mul_lo_u16_sdwa v109, v112, s2 dst_sel:DWORD dst_unused:UNUSED_PAD src0_sel:BYTE_0 src1_sel:DWORD
	v_lshlrev_b64 v[120:121], 5, v[116:117]
	v_lshrrev_b16_e32 v109, 14, v109
	v_lshl_add_u64 v[120:121], s[8:9], 0, v[120:121]
	v_mul_lo_u16_e32 v117, 0x41, v109
	global_load_dwordx4 v[146:149], v[120:121], off offset:848
	global_load_dwordx4 v[150:153], v[120:121], off offset:832
	;; [unrolled: 1-line block ×4, first 2 shown]
	v_sub_u16_e32 v117, v112, v117
	v_mov_b32_e32 v118, 5
	v_lshlrev_b32_sdwa v118, v118, v117 dst_sel:DWORD dst_unused:UNUSED_PAD src0_sel:DWORD src1_sel:BYTE_0
	global_load_dwordx4 v[172:175], v118, s[8:9] offset:848
	global_load_dwordx4 v[176:179], v118, s[8:9] offset:832
	v_mul_lo_u16_sdwa v118, v110, s2 dst_sel:DWORD dst_unused:UNUSED_PAD src0_sel:BYTE_0 src1_sel:DWORD
	v_lshrrev_b16_e32 v118, 14, v118
	v_mul_lo_u16_e32 v118, 0x41, v118
	v_sub_u16_e32 v118, v110, v118
	v_and_b32_e32 v120, 0xff, v118
	v_lshlrev_b32_e32 v118, 5, v120
	global_load_dwordx4 v[180:183], v118, s[8:9] offset:848
	global_load_dwordx4 v[188:191], v118, s[8:9] offset:832
	v_add_u16_e32 v118, 0xc3, v224
	v_mul_lo_u16_sdwa v119, v118, s2 dst_sel:DWORD dst_unused:UNUSED_PAD src0_sel:BYTE_0 src1_sel:DWORD
	v_lshrrev_b16_e32 v119, 14, v119
	v_mul_lo_u16_e32 v119, 0x41, v119
	v_sub_u16_e32 v118, v118, v119
	v_and_b32_e32 v121, 0xff, v118
	v_lshlrev_b32_e32 v118, 5, v121
	s_movk_i32 s2, 0xfc1
	global_load_dwordx4 v[192:195], v118, s[8:9] offset:848
	global_load_dwordx4 v[196:199], v118, s[8:9] offset:832
	v_mul_u32_u24_sdwa v118, v124, s2 dst_sel:DWORD dst_unused:UNUSED_PAD src0_sel:WORD_0 src1_sel:DWORD
	v_lshrrev_b32_e32 v122, 18, v118
	v_mul_lo_u16_e32 v118, 0x41, v122
	v_sub_u16_e32 v123, v124, v118
	v_add_u32_e32 v126, 0x111, v224
	v_lshlrev_b16_e32 v118, 5, v123
	v_mov_b32_e32 v119, 0
	v_lshl_add_u64 v[124:125], s[8:9], 0, v[118:119]
	v_mul_u32_u24_sdwa v118, v126, s2 dst_sel:DWORD dst_unused:UNUSED_PAD src0_sel:WORD_0 src1_sel:DWORD
	v_lshrrev_b32_e32 v118, 18, v118
	v_mul_lo_u16_e32 v118, 0x41, v118
	global_load_dwordx4 v[200:203], v[124:125], off offset:848
	global_load_dwordx4 v[204:207], v[124:125], off offset:832
	v_sub_u16_e32 v124, v126, v118
	v_lshlrev_b16_e32 v118, 5, v124
	v_lshl_add_u64 v[126:127], s[8:9], 0, v[118:119]
	v_add_u32_e32 v118, 0x138, v224
	v_mul_u32_u24_sdwa v125, v118, s2 dst_sel:DWORD dst_unused:UNUSED_PAD src0_sel:WORD_0 src1_sel:DWORD
	v_lshrrev_b32_e32 v125, 18, v125
	global_load_dwordx4 v[208:211], v[126:127], off offset:848
	global_load_dwordx4 v[212:215], v[126:127], off offset:832
	v_mul_lo_u16_e32 v125, 0x41, v125
	v_sub_u16_e32 v125, v118, v125
	v_lshlrev_b16_e32 v118, 5, v125
	v_lshl_add_u64 v[126:127], s[8:9], 0, v[118:119]
	global_load_dwordx4 v[164:167], v[126:127], off offset:832
	global_load_dwordx4 v[160:163], v[126:127], off offset:848
	s_mov_b32 s2, 0xe8584caa
	s_mov_b32 s3, 0x3febb67a
	;; [unrolled: 1-line block ×4, first 2 shown]
	s_waitcnt lgkmcnt(0)
	s_barrier
	s_movk_i32 s16, 0xc3
	v_lshl_add_u32 v225, v125, 4, v185
	s_waitcnt vmcnt(17)
	v_mul_f64 v[132:133], v[104:105], v[140:141]
	s_waitcnt vmcnt(16)
	v_mul_f64 v[126:127], v[102:103], v[144:145]
	v_mul_f64 v[128:129], v[100:101], v[144:145]
	;; [unrolled: 1-line block ×3, first 2 shown]
	v_fma_f64 v[100:101], v[100:101], v[142:143], -v[126:127]
	v_fmac_f64_e32 v[132:133], v[106:107], v[138:139]
	v_fmac_f64_e32 v[128:129], v[102:103], v[142:143]
	v_fma_f64 v[102:103], v[104:105], v[138:139], -v[130:131]
	v_accvgpr_write_b32 a157, v145
	v_accvgpr_write_b32 a153, v141
	;; [unrolled: 1-line block ×3, first 2 shown]
	s_waitcnt vmcnt(15)
	v_mul_f64 v[126:127], v[90:91], v[148:149]
	s_waitcnt vmcnt(14)
	v_mul_f64 v[106:107], v[92:93], v[152:153]
	v_mul_f64 v[104:105], v[94:95], v[152:153]
	v_fmac_f64_e32 v[106:107], v[94:95], v[150:151]
	v_fma_f64 v[94:95], v[88:89], v[146:147], -v[126:127]
	v_mul_f64 v[88:89], v[88:89], v[148:149]
	v_fmac_f64_e32 v[88:89], v[90:91], v[146:147]
	s_waitcnt vmcnt(12)
	v_mul_f64 v[90:91], v[98:99], v[170:171]
	v_fma_f64 v[90:91], v[96:97], v[168:169], -v[90:91]
	v_mul_f64 v[96:97], v[96:97], v[170:171]
	v_fmac_f64_e32 v[96:97], v[98:99], v[168:169]
	v_mul_f64 v[98:99], v[86:87], v[156:157]
	v_fma_f64 v[98:99], v[84:85], v[154:155], -v[98:99]
	v_mul_f64 v[84:85], v[84:85], v[156:157]
	v_fmac_f64_e32 v[84:85], v[86:87], v[154:155]
	s_waitcnt vmcnt(10)
	v_mul_f64 v[86:87], v[82:83], v[178:179]
	v_fma_f64 v[92:93], v[92:93], v[150:151], -v[104:105]
	v_fma_f64 v[86:87], v[80:81], v[176:177], -v[86:87]
	v_mul_f64 v[104:105], v[80:81], v[178:179]
	v_mul_f64 v[80:81], v[74:75], v[174:175]
	v_fma_f64 v[126:127], v[72:73], v[172:173], -v[80:81]
	v_mul_f64 v[130:131], v[72:73], v[174:175]
	s_waitcnt vmcnt(8)
	v_mul_f64 v[72:73], v[78:79], v[190:191]
	v_fma_f64 v[134:135], v[76:77], v[188:189], -v[72:73]
	v_mul_f64 v[72:73], v[70:71], v[182:183]
	v_accvgpr_write_b32 a155, v143
	v_accvgpr_write_b32 a154, v142
	;; [unrolled: 1-line block ×6, first 2 shown]
	v_fma_f64 v[140:141], v[68:69], v[180:181], -v[72:73]
	v_mul_f64 v[142:143], v[68:69], v[182:183]
	s_waitcnt vmcnt(6)
	v_mul_f64 v[68:69], v[66:67], v[198:199]
	v_accvgpr_write_b32 a165, v153
	v_accvgpr_write_b32 a160, v148
	;; [unrolled: 1-line block ×4, first 2 shown]
	v_fma_f64 v[144:145], v[64:65], v[196:197], -v[68:69]
	v_mul_f64 v[146:147], v[64:65], v[198:199]
	v_mul_f64 v[64:65], v[58:59], v[194:195]
	v_accvgpr_write_b32 a164, v152
	v_accvgpr_write_b32 a163, v151
	;; [unrolled: 1-line block ×3, first 2 shown]
	v_fma_f64 v[148:149], v[56:57], v[192:193], -v[64:65]
	v_mul_f64 v[150:151], v[56:57], v[194:195]
	s_waitcnt vmcnt(4)
	v_mul_f64 v[56:57], v[62:63], v[206:207]
	v_accvgpr_write_b32 a169, v157
	v_fma_f64 v[152:153], v[60:61], v[204:205], -v[56:57]
	v_mul_f64 v[56:57], v[50:51], v[202:203]
	v_accvgpr_write_b32 a168, v156
	v_accvgpr_write_b32 a167, v155
	;; [unrolled: 1-line block ×3, first 2 shown]
	v_fma_f64 v[156:157], v[48:49], v[200:201], -v[56:57]
	v_mul_f64 v[158:159], v[48:49], v[202:203]
	s_waitcnt vmcnt(2)
	v_mul_f64 v[48:49], v[46:47], v[214:215]
	v_fmac_f64_e32 v[150:151], v[58:59], v[192:193]
	v_mul_f64 v[154:155], v[60:61], v[206:207]
	v_fma_f64 v[58:59], v[44:45], v[212:213], -v[48:49]
	v_mul_f64 v[60:61], v[44:45], v[214:215]
	v_mul_f64 v[44:45], v[34:35], v[210:211]
	v_fmac_f64_e32 v[154:155], v[62:63], v[204:205]
	v_fma_f64 v[62:63], v[32:33], v[208:209], -v[44:45]
	v_mul_f64 v[32:33], v[32:33], v[210:211]
	v_fmac_f64_e32 v[32:33], v[34:35], v[208:209]
	s_waitcnt vmcnt(1)
	v_mul_f64 v[34:35], v[2:3], v[166:167]
	v_mul_f64 v[56:57], v[0:1], v[166:167]
	v_fma_f64 v[48:49], v[0:1], v[164:165], -v[34:35]
	v_fmac_f64_e32 v[56:57], v[2:3], v[164:165]
	s_waitcnt vmcnt(0)
	v_mul_f64 v[0:1], v[54:55], v[162:163]
	v_add_f64 v[2:3], v[100:101], v[102:103]
	v_fmac_f64_e32 v[158:159], v[50:51], v[200:201]
	v_fma_f64 v[50:51], v[52:53], v[160:161], -v[0:1]
	v_add_f64 v[0:1], v[40:41], v[100:101]
	v_fmac_f64_e32 v[40:41], -0.5, v[2:3]
	v_add_f64 v[2:3], v[128:129], -v[132:133]
	v_add_f64 v[34:35], v[128:129], v[132:133]
	v_fma_f64 v[44:45], s[2:3], v[2:3], v[40:41]
	v_fmac_f64_e32 v[40:41], s[14:15], v[2:3]
	v_add_f64 v[2:3], v[42:43], v[128:129]
	v_fmac_f64_e32 v[42:43], -0.5, v[34:35]
	v_add_f64 v[34:35], v[100:101], -v[102:103]
	v_fmac_f64_e32 v[60:61], v[46:47], v[212:213]
	v_fma_f64 v[46:47], s[14:15], v[34:35], v[42:43]
	v_fmac_f64_e32 v[42:43], s[2:3], v[34:35]
	v_add_f64 v[34:35], v[36:37], v[92:93]
	v_add_f64 v[64:65], v[34:35], v[94:95]
	v_add_f64 v[34:35], v[92:93], v[94:95]
	v_fmac_f64_e32 v[36:37], -0.5, v[34:35]
	v_add_f64 v[34:35], v[106:107], -v[88:89]
	v_fma_f64 v[68:69], s[2:3], v[34:35], v[36:37]
	v_fmac_f64_e32 v[36:37], s[14:15], v[34:35]
	v_add_f64 v[34:35], v[38:39], v[106:107]
	v_fmac_f64_e32 v[146:147], v[66:67], v[196:197]
	v_add_f64 v[66:67], v[34:35], v[88:89]
	v_add_f64 v[34:35], v[106:107], v[88:89]
	v_fmac_f64_e32 v[38:39], -0.5, v[34:35]
	v_add_f64 v[34:35], v[92:93], -v[94:95]
	v_fmac_f64_e32 v[142:143], v[70:71], v[180:181]
	v_fma_f64 v[70:71], s[14:15], v[34:35], v[38:39]
	v_fmac_f64_e32 v[38:39], s[2:3], v[34:35]
	v_add_f64 v[34:35], v[28:29], v[90:91]
	v_add_f64 v[72:73], v[34:35], v[98:99]
	;; [unrolled: 1-line block ×3, first 2 shown]
	v_fmac_f64_e32 v[28:29], -0.5, v[34:35]
	v_add_f64 v[34:35], v[96:97], -v[84:85]
	v_mul_f64 v[138:139], v[76:77], v[190:191]
	v_fma_f64 v[76:77], s[2:3], v[34:35], v[28:29]
	v_fmac_f64_e32 v[28:29], s[14:15], v[34:35]
	v_add_f64 v[34:35], v[30:31], v[96:97]
	v_fmac_f64_e32 v[130:131], v[74:75], v[172:173]
	v_add_f64 v[74:75], v[34:35], v[84:85]
	v_add_f64 v[34:35], v[96:97], v[84:85]
	v_fmac_f64_e32 v[30:31], -0.5, v[34:35]
	v_add_f64 v[34:35], v[90:91], -v[98:99]
	v_fmac_f64_e32 v[138:139], v[78:79], v[188:189]
	v_fma_f64 v[78:79], s[14:15], v[34:35], v[30:31]
	v_fmac_f64_e32 v[30:31], s[2:3], v[34:35]
	v_add_f64 v[34:35], v[24:25], v[86:87]
	v_fmac_f64_e32 v[104:105], v[82:83], v[176:177]
	v_add_f64 v[80:81], v[34:35], v[126:127]
	v_add_f64 v[34:35], v[86:87], v[126:127]
	v_fmac_f64_e32 v[24:25], -0.5, v[34:35]
	v_add_f64 v[34:35], v[104:105], -v[130:131]
	v_fma_f64 v[84:85], s[2:3], v[34:35], v[24:25]
	v_fmac_f64_e32 v[24:25], s[14:15], v[34:35]
	v_add_f64 v[34:35], v[26:27], v[104:105]
	v_add_f64 v[82:83], v[34:35], v[130:131]
	v_add_f64 v[34:35], v[104:105], v[130:131]
	v_fmac_f64_e32 v[26:27], -0.5, v[34:35]
	v_add_f64 v[34:35], v[86:87], -v[126:127]
	v_fma_f64 v[86:87], s[14:15], v[34:35], v[26:27]
	v_fmac_f64_e32 v[26:27], s[2:3], v[34:35]
	v_add_f64 v[34:35], v[20:21], v[134:135]
	;; [unrolled: 7-line block ×5, first 2 shown]
	v_add_f64 v[98:99], v[34:35], v[150:151]
	v_add_f64 v[34:35], v[146:147], v[150:151]
	v_fmac_f64_e32 v[18:19], -0.5, v[34:35]
	v_add_f64 v[34:35], v[144:145], -v[148:149]
	v_add_f64 v[0:1], v[0:1], v[102:103]
	v_fma_f64 v[102:103], s[14:15], v[34:35], v[18:19]
	v_fmac_f64_e32 v[18:19], s[2:3], v[34:35]
	v_add_f64 v[34:35], v[12:13], v[152:153]
	v_add_f64 v[104:105], v[34:35], v[156:157]
	v_add_f64 v[34:35], v[152:153], v[156:157]
	v_fmac_f64_e32 v[12:13], -0.5, v[34:35]
	v_add_f64 v[34:35], v[154:155], -v[158:159]
	v_fma_f64 v[126:127], s[2:3], v[34:35], v[12:13]
	v_fmac_f64_e32 v[12:13], s[14:15], v[34:35]
	v_add_f64 v[34:35], v[14:15], v[154:155]
	v_add_f64 v[106:107], v[34:35], v[158:159]
	v_add_f64 v[34:35], v[154:155], v[158:159]
	v_fmac_f64_e32 v[14:15], -0.5, v[34:35]
	v_add_f64 v[34:35], v[152:153], -v[156:157]
	v_fma_f64 v[128:129], s[14:15], v[34:35], v[14:15]
	v_fmac_f64_e32 v[14:15], s[2:3], v[34:35]
	v_add_f64 v[34:35], v[8:9], v[58:59]
	v_add_f64 v[130:131], v[34:35], v[62:63]
	v_add_f64 v[34:35], v[58:59], v[62:63]
	v_fmac_f64_e32 v[8:9], -0.5, v[34:35]
	v_add_f64 v[34:35], v[60:61], -v[32:33]
	v_fma_f64 v[138:139], s[2:3], v[34:35], v[8:9]
	v_fmac_f64_e32 v[8:9], s[14:15], v[34:35]
	v_add_f64 v[34:35], v[10:11], v[60:61]
	v_add_f64 v[2:3], v[2:3], v[132:133]
	;; [unrolled: 1-line block ×4, first 2 shown]
	v_mul_f64 v[52:53], v[52:53], v[162:163]
	v_fmac_f64_e32 v[10:11], -0.5, v[32:33]
	v_add_f64 v[32:33], v[58:59], -v[62:63]
	v_accvgpr_write_b32 a202, v204
	v_fmac_f64_e32 v[52:53], v[54:55], v[160:161]
	v_fma_f64 v[140:141], s[14:15], v[32:33], v[10:11]
	v_fmac_f64_e32 v[10:11], s[2:3], v[32:33]
	v_add_f64 v[32:33], v[48:49], v[50:51]
	v_accvgpr_write_b32 a203, v205
	v_accvgpr_write_b32 a204, v206
	;; [unrolled: 1-line block ×3, first 2 shown]
	v_fma_f64 v[204:205], -0.5, v[32:33], v[4:5]
	v_add_f64 v[34:35], v[56:57], -v[52:53]
	v_fma_f64 v[32:33], s[2:3], v[34:35], v[204:205]
	v_fmac_f64_e32 v[204:205], s[14:15], v[34:35]
	v_add_f64 v[34:35], v[56:57], v[52:53]
	v_fma_f64 v[206:207], -0.5, v[34:35], v[6:7]
	v_add_f64 v[54:55], v[48:49], -v[50:51]
	v_fma_f64 v[34:35], s[14:15], v[54:55], v[206:207]
	v_fmac_f64_e32 v[206:207], s[2:3], v[54:55]
	ds_write_b128 v184, v[0:3]
	ds_write_b128 v184, v[44:47] offset:1040
	ds_write_b128 v184, v[40:43] offset:2080
	v_mov_b32_e32 v0, 0xc3
	v_cmp_lt_u16_e64 s[2:3], 25, v224
	v_accvgpr_write_b32 a173, v171
	v_accvgpr_write_b32 a181, v179
	v_cndmask_b32_e64 v0, 0, v0, s[2:3]
	v_add_u32_e32 v0, v116, v0
	v_lshl_add_u32 v0, v0, 4, v185
	ds_write_b128 v0, v[64:67]
	ds_write_b128 v0, v[68:71] offset:1040
	scratch_store_dword off, v0, off offset:20 ; 4-byte Folded Spill
	ds_write_b128 v0, v[36:39] offset:2080
	ds_write_b128 v184, v[72:75] offset:3328
	;; [unrolled: 1-line block ×4, first 2 shown]
	v_mul_u32_u24_e32 v0, 0xc3, v109
	v_add_u32_sdwa v0, v0, v117 dst_sel:DWORD dst_unused:UNUSED_PAD src0_sel:DWORD src1_sel:BYTE_0
	v_lshl_add_u32 v0, v0, 4, v185
	ds_write_b128 v0, v[80:83]
	ds_write_b128 v0, v[84:87] offset:1040
	scratch_store_dword off, v0, off offset:24 ; 4-byte Folded Spill
	ds_write_b128 v0, v[24:27] offset:2080
	v_lshl_add_u32 v0, v120, 4, v185
	ds_write_b128 v0, v[88:91] offset:6240
	ds_write_b128 v0, v[92:95] offset:7280
	scratch_store_dword off, v0, off offset:28 ; 4-byte Folded Spill
	ds_write_b128 v0, v[20:23] offset:8320
	v_lshl_add_u32 v0, v121, 4, v185
	ds_write_b128 v0, v[96:99] offset:9360
	ds_write_b128 v0, v[100:103] offset:10400
	v_accvgpr_write_b32 a3, v0
	ds_write_b128 v0, v[16:19] offset:11440
	v_mad_legacy_u16 v0, v122, s16, v123
	v_lshl_add_u32 v0, v0, 4, v185
	v_accvgpr_write_b32 a177, v175
	v_accvgpr_write_b32 a186, v188
	v_accvgpr_write_b32 a185, v183
	v_accvgpr_write_b32 a194, v196
	v_accvgpr_write_b32 a190, v192
	v_accvgpr_write_b32 a198, v200
	v_accvgpr_write_b32 a210, v212
	v_accvgpr_write_b32 a206, v208
	v_accvgpr_write_b32 a134, v164
	v_accvgpr_write_b32 a130, v160
	ds_write_b128 v0, v[104:107]
	ds_write_b128 v0, v[126:129] offset:1040
	v_accvgpr_write_b32 a5, v0
	ds_write_b128 v0, v[12:15] offset:2080
	v_lshl_add_u32 v0, v124, 4, v185
	v_accvgpr_write_b32 a172, v170
	v_accvgpr_write_b32 a171, v169
	;; [unrolled: 1-line block ×37, first 2 shown]
	ds_write_b128 v0, v[130:133] offset:12480
	ds_write_b128 v0, v[138:141] offset:13520
	;; [unrolled: 1-line block ×3, first 2 shown]
	s_and_saveexec_b64 s[2:3], s[0:1]
	s_cbranch_execz .LBB0_11
; %bb.10:
	v_add_f64 v[0:1], v[6:7], v[56:57]
	v_add_f64 v[2:3], v[0:1], v[52:53]
	v_add_f64 v[0:1], v[4:5], v[48:49]
	v_add_f64 v[0:1], v[0:1], v[50:51]
	ds_write_b128 v225, v[0:3] offset:12480
	ds_write_b128 v225, v[32:35] offset:13520
	;; [unrolled: 1-line block ×3, first 2 shown]
.LBB0_11:
	s_or_b64 exec, exec, s[2:3]
	v_lshlrev_b32_e32 v118, 4, v224
	v_lshlrev_b32_e32 v104, 6, v224
	v_lshl_add_u64 v[138:139], s[12:13], 0, v[118:119]
	s_waitcnt lgkmcnt(0)
	s_barrier
	ds_read_b128 v[80:83], v184
	ds_read_b128 v[100:103], v184 offset:3120
	ds_read_b128 v[96:99], v184 offset:6240
	;; [unrolled: 1-line block ×24, first 2 shown]
	global_load_dwordx4 v[122:125], v104, s[8:9] offset:2960
	global_load_dwordx4 v[126:129], v104, s[8:9] offset:2944
	;; [unrolled: 1-line block ×4, first 2 shown]
	s_mov_b32 s2, 0x4755a5e
	s_mov_b32 s15, 0xbfee6f0e
	;; [unrolled: 1-line block ×7, first 2 shown]
	v_lshl_add_u32 v186, v137, 4, v136
	s_waitcnt vmcnt(3) lgkmcnt(14)
	v_mul_f64 v[106:107], v[88:89], v[124:125]
	s_waitcnt vmcnt(2)
	v_accvgpr_write_b32 a227, v129
	v_accvgpr_write_b32 a226, v128
	s_waitcnt vmcnt(0)
	v_mul_f64 v[104:105], v[102:103], v[120:121]
	v_fma_f64 v[116:117], v[100:101], v[118:119], -v[104:105]
	v_mul_f64 v[100:101], v[100:101], v[120:121]
	v_accvgpr_write_b32 a235, v121
	v_fmac_f64_e32 v[100:101], v[102:103], v[118:119]
	v_mul_f64 v[102:103], v[98:99], v[132:133]
	v_accvgpr_write_b32 a234, v120
	v_accvgpr_write_b32 a233, v119
	;; [unrolled: 1-line block ×3, first 2 shown]
	v_fma_f64 v[120:121], v[96:97], v[130:131], -v[102:103]
	v_mul_f64 v[102:103], v[96:97], v[132:133]
	v_mul_f64 v[96:97], v[94:95], v[128:129]
	v_fmac_f64_e32 v[102:103], v[98:99], v[130:131]
	v_fma_f64 v[98:99], v[92:93], v[126:127], -v[96:97]
	v_mul_f64 v[104:105], v[92:93], v[128:129]
	v_mul_f64 v[92:93], v[90:91], v[124:125]
	v_fmac_f64_e32 v[104:105], v[94:95], v[126:127]
	v_fma_f64 v[94:95], v[88:89], v[122:123], -v[92:93]
	v_lshlrev_b32_e32 v88, 6, v108
	v_accvgpr_write_b32 a225, v127
	v_accvgpr_write_b32 a224, v126
	v_fmac_f64_e32 v[106:107], v[90:91], v[122:123]
	global_load_dwordx4 v[90:93], v88, s[8:9] offset:2960
	global_load_dwordx4 v[126:129], v88, s[8:9] offset:2944
	;; [unrolled: 1-line block ×4, first 2 shown]
	v_accvgpr_write_b32 a223, v125
	v_accvgpr_write_b32 a222, v124
	;; [unrolled: 1-line block ×8, first 2 shown]
	s_waitcnt vmcnt(3)
	v_accvgpr_write_b32 a239, v93
	s_waitcnt vmcnt(2)
	v_accvgpr_write_b32 a243, v129
	v_accvgpr_write_b32 a242, v128
	s_waitcnt vmcnt(0)
	v_mul_f64 v[88:89], v[86:87], v[238:239]
	v_fma_f64 v[122:123], v[84:85], v[236:237], -v[88:89]
	v_mul_f64 v[118:119], v[84:85], v[238:239]
	v_mul_f64 v[84:85], v[74:75], v[234:235]
	v_fma_f64 v[124:125], v[72:73], v[232:233], -v[84:85]
	v_mul_f64 v[72:73], v[72:73], v[234:235]
	v_fmac_f64_e32 v[72:73], v[74:75], v[232:233]
	v_mul_f64 v[74:75], v[70:71], v[128:129]
	v_fma_f64 v[74:75], v[68:69], v[126:127], -v[74:75]
	v_mul_f64 v[68:69], v[68:69], v[128:129]
	v_fmac_f64_e32 v[68:69], v[70:71], v[126:127]
	v_mul_f64 v[70:71], v[66:67], v[92:93]
	v_accvgpr_write_b32 a241, v127
	v_accvgpr_write_b32 a240, v126
	v_fma_f64 v[128:129], v[64:65], v[90:91], -v[70:71]
	v_mul_f64 v[64:65], v[64:65], v[92:93]
	v_fmac_f64_e32 v[64:65], v[66:67], v[90:91]
	v_lshlrev_b64 v[66:67], 6, v[114:115]
	v_lshl_add_u64 v[66:67], s[8:9], 0, v[66:67]
	global_load_dwordx4 v[240:243], v[66:67], off offset:2960
	global_load_dwordx4 v[244:247], v[66:67], off offset:2944
	;; [unrolled: 1-line block ×4, first 2 shown]
	v_accvgpr_write_b32 a238, v92
	v_accvgpr_write_b32 a237, v91
	;; [unrolled: 1-line block ×3, first 2 shown]
	v_fmac_f64_e32 v[118:119], v[86:87], v[236:237]
	s_waitcnt vmcnt(3) lgkmcnt(10)
	v_mul_f64 v[130:131], v[0:1], v[242:243]
	s_waitcnt vmcnt(2)
	v_mul_f64 v[126:127], v[4:5], v[246:247]
	s_waitcnt vmcnt(1)
	;; [unrolled: 2-line block ×3, first 2 shown]
	v_mul_f64 v[66:67], v[14:15], v[254:255]
	v_fma_f64 v[134:135], v[12:13], v[252:253], -v[66:67]
	v_mul_f64 v[66:67], v[12:13], v[254:255]
	v_mul_f64 v[12:13], v[10:11], v[250:251]
	v_fma_f64 v[140:141], v[8:9], v[248:249], -v[12:13]
	v_mul_f64 v[8:9], v[6:7], v[246:247]
	v_fma_f64 v[142:143], v[4:5], v[244:245], -v[8:9]
	;; [unrolled: 2-line block ×3, first 2 shown]
	v_lshlrev_b64 v[0:1], 6, v[112:113]
	v_lshl_add_u64 v[12:13], s[8:9], 0, v[0:1]
	v_fmac_f64_e32 v[66:67], v[14:15], v[252:253]
	v_fmac_f64_e32 v[70:71], v[10:11], v[248:249]
	;; [unrolled: 1-line block ×4, first 2 shown]
	global_load_dwordx4 v[0:3], v[12:13], off offset:2960
	global_load_dwordx4 v[4:7], v[12:13], off offset:2944
	;; [unrolled: 1-line block ×3, first 2 shown]
	s_nop 0
	global_load_dwordx4 v[12:15], v[12:13], off offset:2912
	s_waitcnt vmcnt(3) lgkmcnt(5)
	v_mul_f64 v[152:153], v[16:17], v[2:3]
	s_waitcnt vmcnt(2)
	v_mul_f64 v[150:151], v[20:21], v[6:7]
	s_waitcnt vmcnt(1)
	;; [unrolled: 2-line block ×3, first 2 shown]
	v_mul_f64 v[84:85], v[30:31], v[14:15]
	v_fma_f64 v[154:155], v[28:29], v[12:13], -v[84:85]
	v_mul_f64 v[144:145], v[28:29], v[14:15]
	v_mul_f64 v[28:29], v[26:27], v[10:11]
	v_fma_f64 v[156:157], v[24:25], v[8:9], -v[28:29]
	v_mul_f64 v[24:25], v[22:23], v[6:7]
	v_fma_f64 v[158:159], v[20:21], v[4:5], -v[24:25]
	;; [unrolled: 2-line block ×3, first 2 shown]
	v_lshlrev_b64 v[16:17], 6, v[110:111]
	v_lshl_add_u64 v[28:29], s[8:9], 0, v[16:17]
	v_fmac_f64_e32 v[144:145], v[30:31], v[12:13]
	v_fmac_f64_e32 v[148:149], v[26:27], v[8:9]
	;; [unrolled: 1-line block ×4, first 2 shown]
	global_load_dwordx4 v[16:19], v[28:29], off offset:2960
	global_load_dwordx4 v[20:23], v[28:29], off offset:2944
	;; [unrolled: 1-line block ×3, first 2 shown]
	s_nop 0
	global_load_dwordx4 v[28:31], v[28:29], off offset:2912
	s_mov_b32 s8, 0x134454ff
	s_mov_b32 s9, 0x3fee6f0e
	;; [unrolled: 1-line block ×3, first 2 shown]
	s_waitcnt vmcnt(3) lgkmcnt(0)
	v_mul_f64 v[168:169], v[48:49], v[18:19]
	s_waitcnt vmcnt(2)
	v_mul_f64 v[166:167], v[52:53], v[22:23]
	s_waitcnt vmcnt(1)
	;; [unrolled: 2-line block ×3, first 2 shown]
	v_mul_f64 v[84:85], v[62:63], v[30:31]
	v_fma_f64 v[170:171], v[60:61], v[28:29], -v[84:85]
	v_mul_f64 v[162:163], v[60:61], v[30:31]
	v_mul_f64 v[60:61], v[58:59], v[26:27]
	v_fma_f64 v[172:173], v[56:57], v[24:25], -v[60:61]
	v_mul_f64 v[56:57], v[54:55], v[22:23]
	v_fma_f64 v[174:175], v[52:53], v[20:21], -v[56:57]
	;; [unrolled: 2-line block ×3, first 2 shown]
	v_add_f64 v[48:49], v[80:81], v[116:117]
	v_add_f64 v[48:49], v[48:49], v[120:121]
	;; [unrolled: 1-line block ×5, first 2 shown]
	v_fma_f64 v[84:85], -0.5, v[48:49], v[80:81]
	v_add_f64 v[48:49], v[100:101], -v[106:107]
	v_fmac_f64_e32 v[166:167], v[54:55], v[20:21]
	v_fmac_f64_e32 v[168:169], v[50:51], v[16:17]
	v_fma_f64 v[92:93], s[8:9], v[48:49], v[84:85]
	v_add_f64 v[50:51], v[102:103], -v[104:105]
	v_add_f64 v[52:53], v[116:117], -v[120:121]
	v_add_f64 v[54:55], v[94:95], -v[98:99]
	v_fmac_f64_e32 v[84:85], s[14:15], v[48:49]
	v_fmac_f64_e32 v[92:93], s[2:3], v[50:51]
	v_add_f64 v[52:53], v[52:53], v[54:55]
	v_fmac_f64_e32 v[84:85], s[16:17], v[50:51]
	v_fmac_f64_e32 v[92:93], s[12:13], v[52:53]
	v_fmac_f64_e32 v[84:85], s[12:13], v[52:53]
	v_add_f64 v[52:53], v[116:117], v[94:95]
	v_fmac_f64_e32 v[80:81], -0.5, v[52:53]
	v_fma_f64 v[96:97], s[14:15], v[50:51], v[80:81]
	v_fmac_f64_e32 v[80:81], s[8:9], v[50:51]
	v_fmac_f64_e32 v[96:97], s[2:3], v[48:49]
	v_fmac_f64_e32 v[80:81], s[16:17], v[48:49]
	v_add_f64 v[48:49], v[82:83], v[100:101]
	v_add_f64 v[48:49], v[48:49], v[102:103]
	v_add_f64 v[48:49], v[48:49], v[104:105]
	v_add_f64 v[52:53], v[120:121], -v[116:117]
	v_add_f64 v[54:55], v[98:99], -v[94:95]
	v_add_f64 v[90:91], v[48:49], v[106:107]
	v_add_f64 v[48:49], v[102:103], v[104:105]
	v_add_f64 v[52:53], v[52:53], v[54:55]
	v_fma_f64 v[86:87], -0.5, v[48:49], v[82:83]
	v_add_f64 v[48:49], v[116:117], -v[94:95]
	v_fmac_f64_e32 v[96:97], s[12:13], v[52:53]
	v_fmac_f64_e32 v[80:81], s[12:13], v[52:53]
	v_fma_f64 v[94:95], s[14:15], v[48:49], v[86:87]
	v_add_f64 v[50:51], v[120:121], -v[98:99]
	v_add_f64 v[52:53], v[100:101], -v[102:103]
	v_add_f64 v[54:55], v[106:107], -v[104:105]
	v_fmac_f64_e32 v[86:87], s[8:9], v[48:49]
	v_fmac_f64_e32 v[94:95], s[16:17], v[50:51]
	v_add_f64 v[52:53], v[52:53], v[54:55]
	v_fmac_f64_e32 v[86:87], s[2:3], v[50:51]
	v_fmac_f64_e32 v[94:95], s[12:13], v[52:53]
	v_fmac_f64_e32 v[86:87], s[12:13], v[52:53]
	v_add_f64 v[52:53], v[100:101], v[106:107]
	v_fmac_f64_e32 v[82:83], -0.5, v[52:53]
	v_fma_f64 v[98:99], s[8:9], v[50:51], v[82:83]
	v_fmac_f64_e32 v[82:83], s[14:15], v[50:51]
	v_fmac_f64_e32 v[98:99], s[16:17], v[48:49]
	v_fmac_f64_e32 v[82:83], s[2:3], v[48:49]
	v_add_f64 v[48:49], v[76:77], v[122:123]
	v_add_f64 v[48:49], v[48:49], v[124:125]
	v_add_f64 v[48:49], v[48:49], v[74:75]
	v_add_f64 v[52:53], v[102:103], -v[100:101]
	v_add_f64 v[54:55], v[104:105], -v[106:107]
	v_add_f64 v[104:105], v[48:49], v[128:129]
	v_add_f64 v[48:49], v[124:125], v[74:75]
	v_add_f64 v[52:53], v[52:53], v[54:55]
	;; [unrolled: 28-line block ×5, first 2 shown]
	v_fma_f64 v[50:51], -0.5, v[50:51], v[38:39]
	v_add_f64 v[52:53], v[134:135], -v[146:147]
	v_fmac_f64_e32 v[164:165], v[58:59], v[24:25]
	v_fmac_f64_e32 v[132:133], s[12:13], v[54:55]
	;; [unrolled: 1-line block ×3, first 2 shown]
	v_fma_f64 v[118:119], s[14:15], v[52:53], v[50:51]
	v_add_f64 v[54:55], v[140:141], -v[142:143]
	v_add_f64 v[56:57], v[66:67], -v[70:71]
	;; [unrolled: 1-line block ×3, first 2 shown]
	v_fmac_f64_e32 v[50:51], s[8:9], v[52:53]
	v_fmac_f64_e32 v[118:119], s[16:17], v[54:55]
	v_add_f64 v[56:57], v[56:57], v[58:59]
	v_fmac_f64_e32 v[50:51], s[2:3], v[54:55]
	v_fmac_f64_e32 v[118:119], s[12:13], v[56:57]
	;; [unrolled: 1-line block ×3, first 2 shown]
	v_add_f64 v[56:57], v[66:67], v[130:131]
	v_fmac_f64_e32 v[38:39], -0.5, v[56:57]
	v_fma_f64 v[134:135], s[8:9], v[54:55], v[38:39]
	v_fmac_f64_e32 v[38:39], s[14:15], v[54:55]
	v_fmac_f64_e32 v[134:135], s[16:17], v[52:53]
	;; [unrolled: 1-line block ×3, first 2 shown]
	v_add_f64 v[52:53], v[40:41], v[154:155]
	v_add_f64 v[52:53], v[52:53], v[156:157]
	;; [unrolled: 1-line block ×3, first 2 shown]
	v_add_f64 v[56:57], v[70:71], -v[66:67]
	v_add_f64 v[58:59], v[126:127], -v[130:131]
	v_add_f64 v[124:125], v[52:53], v[160:161]
	v_add_f64 v[52:53], v[156:157], v[158:159]
	;; [unrolled: 1-line block ×3, first 2 shown]
	v_fma_f64 v[52:53], -0.5, v[52:53], v[40:41]
	v_add_f64 v[54:55], v[144:145], -v[152:153]
	v_fmac_f64_e32 v[134:135], s[12:13], v[56:57]
	v_fmac_f64_e32 v[38:39], s[12:13], v[56:57]
	v_fma_f64 v[128:129], s[8:9], v[54:55], v[52:53]
	v_add_f64 v[58:59], v[148:149], -v[150:151]
	v_add_f64 v[56:57], v[154:155], -v[156:157]
	;; [unrolled: 1-line block ×3, first 2 shown]
	v_fmac_f64_e32 v[52:53], s[14:15], v[54:55]
	v_fmac_f64_e32 v[128:129], s[2:3], v[58:59]
	v_add_f64 v[56:57], v[56:57], v[60:61]
	v_fmac_f64_e32 v[52:53], s[16:17], v[58:59]
	v_fmac_f64_e32 v[128:129], s[12:13], v[56:57]
	;; [unrolled: 1-line block ×3, first 2 shown]
	v_add_f64 v[56:57], v[154:155], v[160:161]
	v_fmac_f64_e32 v[40:41], -0.5, v[56:57]
	v_fma_f64 v[56:57], s[14:15], v[58:59], v[40:41]
	v_fmac_f64_e32 v[40:41], s[8:9], v[58:59]
	v_fmac_f64_e32 v[56:57], s[2:3], v[54:55]
	;; [unrolled: 1-line block ×3, first 2 shown]
	v_add_f64 v[54:55], v[42:43], v[144:145]
	v_add_f64 v[54:55], v[54:55], v[148:149]
	v_fmac_f64_e32 v[162:163], v[62:63], v[28:29]
	v_add_f64 v[60:61], v[156:157], -v[154:155]
	v_add_f64 v[62:63], v[158:159], -v[160:161]
	v_add_f64 v[54:55], v[54:55], v[150:151]
	v_add_f64 v[60:61], v[60:61], v[62:63]
	;; [unrolled: 1-line block ×4, first 2 shown]
	v_fmac_f64_e32 v[56:57], s[12:13], v[60:61]
	v_fmac_f64_e32 v[40:41], s[12:13], v[60:61]
	v_fma_f64 v[54:55], -0.5, v[54:55], v[42:43]
	v_add_f64 v[60:61], v[154:155], -v[160:161]
	v_fma_f64 v[130:131], s[14:15], v[60:61], v[54:55]
	v_add_f64 v[62:63], v[156:157], -v[158:159]
	v_add_f64 v[58:59], v[144:145], -v[148:149]
	;; [unrolled: 1-line block ×3, first 2 shown]
	v_fmac_f64_e32 v[54:55], s[8:9], v[60:61]
	v_fmac_f64_e32 v[130:131], s[16:17], v[62:63]
	v_add_f64 v[58:59], v[58:59], v[64:65]
	v_fmac_f64_e32 v[54:55], s[2:3], v[62:63]
	v_fmac_f64_e32 v[130:131], s[12:13], v[58:59]
	;; [unrolled: 1-line block ×3, first 2 shown]
	v_add_f64 v[58:59], v[144:145], v[152:153]
	v_fmac_f64_e32 v[42:43], -0.5, v[58:59]
	v_fma_f64 v[58:59], s[8:9], v[62:63], v[42:43]
	v_add_f64 v[64:65], v[148:149], -v[144:145]
	v_add_f64 v[66:67], v[150:151], -v[152:153]
	v_fmac_f64_e32 v[42:43], s[14:15], v[62:63]
	v_add_f64 v[62:63], v[172:173], v[174:175]
	v_fmac_f64_e32 v[58:59], s[16:17], v[60:61]
	v_add_f64 v[64:65], v[64:65], v[66:67]
	v_fmac_f64_e32 v[42:43], s[2:3], v[60:61]
	v_fma_f64 v[68:69], -0.5, v[62:63], v[44:45]
	v_add_f64 v[62:63], v[162:163], -v[168:169]
	v_fmac_f64_e32 v[58:59], s[12:13], v[64:65]
	v_fmac_f64_e32 v[42:43], s[12:13], v[64:65]
	v_fma_f64 v[64:65], s[8:9], v[62:63], v[68:69]
	v_add_f64 v[66:67], v[164:165], -v[166:167]
	v_add_f64 v[70:71], v[170:171], -v[172:173]
	;; [unrolled: 1-line block ×3, first 2 shown]
	v_fmac_f64_e32 v[68:69], s[14:15], v[62:63]
	v_fmac_f64_e32 v[64:65], s[2:3], v[66:67]
	v_add_f64 v[70:71], v[70:71], v[72:73]
	v_fmac_f64_e32 v[68:69], s[16:17], v[66:67]
	v_fmac_f64_e32 v[64:65], s[12:13], v[70:71]
	;; [unrolled: 1-line block ×3, first 2 shown]
	v_add_f64 v[70:71], v[170:171], v[176:177]
	v_add_f64 v[60:61], v[44:45], v[170:171]
	v_fmac_f64_e32 v[44:45], -0.5, v[70:71]
	v_fma_f64 v[72:73], s[14:15], v[66:67], v[44:45]
	v_add_f64 v[70:71], v[172:173], -v[170:171]
	v_add_f64 v[74:75], v[174:175], -v[176:177]
	v_fmac_f64_e32 v[44:45], s[8:9], v[66:67]
	v_fmac_f64_e32 v[72:73], s[2:3], v[62:63]
	v_add_f64 v[70:71], v[70:71], v[74:75]
	v_fmac_f64_e32 v[44:45], s[16:17], v[62:63]
	v_add_f64 v[66:67], v[164:165], v[166:167]
	v_fmac_f64_e32 v[72:73], s[12:13], v[70:71]
	v_fmac_f64_e32 v[44:45], s[12:13], v[70:71]
	v_fma_f64 v[70:71], -0.5, v[66:67], v[46:47]
	v_add_f64 v[140:141], v[170:171], -v[176:177]
	v_fma_f64 v[66:67], s[14:15], v[140:141], v[70:71]
	v_add_f64 v[142:143], v[172:173], -v[174:175]
	v_add_f64 v[74:75], v[162:163], -v[164:165]
	v_add_f64 v[144:145], v[168:169], -v[166:167]
	v_fmac_f64_e32 v[70:71], s[8:9], v[140:141]
	v_fmac_f64_e32 v[66:67], s[16:17], v[142:143]
	v_add_f64 v[74:75], v[74:75], v[144:145]
	v_fmac_f64_e32 v[70:71], s[2:3], v[142:143]
	v_fmac_f64_e32 v[66:67], s[12:13], v[74:75]
	;; [unrolled: 1-line block ×3, first 2 shown]
	v_add_f64 v[74:75], v[162:163], v[168:169]
	v_add_f64 v[62:63], v[46:47], v[162:163]
	v_fmac_f64_e32 v[46:47], -0.5, v[74:75]
	v_fma_f64 v[74:75], s[8:9], v[142:143], v[46:47]
	v_add_f64 v[144:145], v[164:165], -v[162:163]
	v_add_f64 v[146:147], v[166:167], -v[168:169]
	v_fmac_f64_e32 v[46:47], s[14:15], v[142:143]
	v_fmac_f64_e32 v[74:75], s[16:17], v[140:141]
	v_add_f64 v[144:145], v[144:145], v[146:147]
	v_fmac_f64_e32 v[46:47], s[2:3], v[140:141]
	v_fmac_f64_e32 v[74:75], s[12:13], v[144:145]
	;; [unrolled: 1-line block ×3, first 2 shown]
	s_mov_b64 s[2:3], 0x3cf0
	s_movk_i32 s12, 0x3000
	v_add_f64 v[60:61], v[60:61], v[172:173]
	v_add_f64 v[62:63], v[62:63], v[164:165]
	ds_write_b128 v184, v[88:91]
	ds_write_b128 v184, v[92:95] offset:3120
	ds_write_b128 v184, v[96:99] offset:6240
	ds_write_b128 v184, v[80:83] offset:9360
	ds_write_b128 v184, v[84:87] offset:12480
	ds_write_b128 v184, v[104:107] offset:624
	ds_write_b128 v184, v[108:111] offset:3744
	ds_write_b128 v184, v[112:115] offset:6864
	ds_write_b128 v184, v[76:79] offset:9984
	ds_write_b128 v184, v[100:103] offset:13104
	ds_write_b128 v184, v[120:123] offset:1248
	v_lshl_add_u64 v[80:81], v[138:139], 0, s[2:3]
	v_add_co_u32_e64 v82, s[2:3], s12, v138
	v_add_f64 v[60:61], v[60:61], v[174:175]
	v_add_f64 v[62:63], v[62:63], v[166:167]
	v_addc_co_u32_e64 v83, s[2:3], 0, v139, s[2:3]
	v_add_f64 v[60:61], v[60:61], v[176:177]
	v_add_f64 v[62:63], v[62:63], v[168:169]
	ds_write_b128 v186, v[116:119] offset:4368
	ds_write_b128 v186, v[132:135] offset:7488
	;; [unrolled: 1-line block ×14, first 2 shown]
	s_waitcnt lgkmcnt(0)
	s_barrier
	global_load_dwordx4 v[82:85], v[82:83], off offset:3312
	ds_read_b128 v[76:79], v184
	s_movk_i32 s2, 0x4000
	s_waitcnt vmcnt(0) lgkmcnt(0)
	v_mul_f64 v[86:87], v[78:79], v[84:85]
	v_mul_f64 v[88:89], v[76:77], v[84:85]
	v_fma_f64 v[86:87], v[76:77], v[82:83], -v[86:87]
	v_fmac_f64_e32 v[88:89], v[78:79], v[82:83]
	global_load_dwordx4 v[82:85], v[80:81], off offset:1200
	ds_read_b128 v[76:79], v184 offset:1200
	ds_write_b128 v184, v[86:89]
	s_waitcnt vmcnt(0) lgkmcnt(1)
	v_mul_f64 v[86:87], v[78:79], v[84:85]
	v_mul_f64 v[88:89], v[76:77], v[84:85]
	v_fma_f64 v[86:87], v[76:77], v[82:83], -v[86:87]
	v_fmac_f64_e32 v[88:89], v[78:79], v[82:83]
	global_load_dwordx4 v[82:85], v[80:81], off offset:2400
	ds_read_b128 v[76:79], v184 offset:2400
	ds_write_b128 v184, v[86:89] offset:1200
	s_waitcnt vmcnt(0) lgkmcnt(1)
	v_mul_f64 v[86:87], v[78:79], v[84:85]
	v_mul_f64 v[88:89], v[76:77], v[84:85]
	v_fma_f64 v[86:87], v[76:77], v[82:83], -v[86:87]
	v_fmac_f64_e32 v[88:89], v[78:79], v[82:83]
	global_load_dwordx4 v[82:85], v[80:81], off offset:3600
	ds_read_b128 v[76:79], v184 offset:3600
	ds_write_b128 v184, v[86:89] offset:2400
	s_waitcnt vmcnt(0) lgkmcnt(1)
	v_mul_f64 v[86:87], v[78:79], v[84:85]
	v_mul_f64 v[88:89], v[76:77], v[84:85]
	v_fma_f64 v[86:87], v[76:77], v[82:83], -v[86:87]
	v_fmac_f64_e32 v[88:89], v[78:79], v[82:83]
	v_add_co_u32_e64 v82, s[2:3], s2, v138
	ds_read_b128 v[76:79], v184 offset:4800
	s_nop 0
	v_addc_co_u32_e64 v83, s[2:3], 0, v139, s[2:3]
	global_load_dwordx4 v[82:85], v[82:83], off offset:4016
	s_movk_i32 s2, 0x5000
	v_add_co_u32_e64 v90, s[2:3], s2, v138
	ds_write_b128 v184, v[86:89] offset:3600
	s_nop 0
	v_addc_co_u32_e64 v91, s[2:3], 0, v139, s[2:3]
	s_movk_i32 s2, 0x6000
	s_waitcnt vmcnt(0) lgkmcnt(1)
	v_mul_f64 v[86:87], v[78:79], v[84:85]
	v_mul_f64 v[88:89], v[76:77], v[84:85]
	v_fma_f64 v[86:87], v[76:77], v[82:83], -v[86:87]
	v_fmac_f64_e32 v[88:89], v[78:79], v[82:83]
	global_load_dwordx4 v[82:85], v[90:91], off offset:1120
	ds_read_b128 v[76:79], v184 offset:6000
	ds_write_b128 v184, v[86:89] offset:4800
	s_waitcnt vmcnt(0) lgkmcnt(1)
	v_mul_f64 v[86:87], v[78:79], v[84:85]
	v_mul_f64 v[88:89], v[76:77], v[84:85]
	v_fma_f64 v[86:87], v[76:77], v[82:83], -v[86:87]
	v_fmac_f64_e32 v[88:89], v[78:79], v[82:83]
	global_load_dwordx4 v[82:85], v[90:91], off offset:2320
	ds_read_b128 v[76:79], v184 offset:7200
	ds_write_b128 v184, v[86:89] offset:6000
	s_waitcnt vmcnt(0) lgkmcnt(1)
	v_mul_f64 v[86:87], v[78:79], v[84:85]
	v_mul_f64 v[88:89], v[76:77], v[84:85]
	v_fma_f64 v[86:87], v[76:77], v[82:83], -v[86:87]
	v_fmac_f64_e32 v[88:89], v[78:79], v[82:83]
	global_load_dwordx4 v[82:85], v[90:91], off offset:3520
	ds_read_b128 v[76:79], v184 offset:8400
	v_add_co_u32_e64 v90, s[2:3], s2, v138
	ds_write_b128 v184, v[86:89] offset:7200
	s_nop 0
	v_addc_co_u32_e64 v91, s[2:3], 0, v139, s[2:3]
	s_movk_i32 s2, 0x7000
	s_waitcnt vmcnt(0) lgkmcnt(1)
	v_mul_f64 v[86:87], v[78:79], v[84:85]
	v_mul_f64 v[88:89], v[76:77], v[84:85]
	v_fma_f64 v[86:87], v[76:77], v[82:83], -v[86:87]
	v_fmac_f64_e32 v[88:89], v[78:79], v[82:83]
	global_load_dwordx4 v[82:85], v[90:91], off offset:624
	ds_read_b128 v[76:79], v184 offset:9600
	ds_write_b128 v184, v[86:89] offset:8400
	s_waitcnt vmcnt(0) lgkmcnt(1)
	v_mul_f64 v[86:87], v[78:79], v[84:85]
	v_mul_f64 v[88:89], v[76:77], v[84:85]
	v_fma_f64 v[86:87], v[76:77], v[82:83], -v[86:87]
	v_fmac_f64_e32 v[88:89], v[78:79], v[82:83]
	global_load_dwordx4 v[82:85], v[90:91], off offset:1824
	ds_read_b128 v[76:79], v184 offset:10800
	ds_write_b128 v184, v[86:89] offset:9600
	s_waitcnt vmcnt(0) lgkmcnt(1)
	v_mul_f64 v[86:87], v[78:79], v[84:85]
	v_mul_f64 v[88:89], v[76:77], v[84:85]
	v_fma_f64 v[86:87], v[76:77], v[82:83], -v[86:87]
	v_fmac_f64_e32 v[88:89], v[78:79], v[82:83]
	global_load_dwordx4 v[82:85], v[90:91], off offset:3024
	ds_read_b128 v[76:79], v184 offset:12000
	v_add_co_u32_e64 v90, s[2:3], s2, v138
	ds_write_b128 v184, v[86:89] offset:10800
	s_nop 0
	v_addc_co_u32_e64 v91, s[2:3], 0, v139, s[2:3]
	s_waitcnt vmcnt(0) lgkmcnt(1)
	v_mul_f64 v[86:87], v[78:79], v[84:85]
	v_mul_f64 v[88:89], v[76:77], v[84:85]
	v_fma_f64 v[86:87], v[76:77], v[82:83], -v[86:87]
	v_fmac_f64_e32 v[88:89], v[78:79], v[82:83]
	global_load_dwordx4 v[82:85], v[90:91], off offset:128
	ds_read_b128 v[76:79], v184 offset:13200
	ds_write_b128 v184, v[86:89] offset:12000
	s_waitcnt vmcnt(0) lgkmcnt(1)
	v_mul_f64 v[86:87], v[78:79], v[84:85]
	v_mul_f64 v[88:89], v[76:77], v[84:85]
	v_fma_f64 v[86:87], v[76:77], v[82:83], -v[86:87]
	v_fmac_f64_e32 v[88:89], v[78:79], v[82:83]
	global_load_dwordx4 v[82:85], v[90:91], off offset:1328
	ds_read_b128 v[76:79], v184 offset:14400
	ds_write_b128 v184, v[86:89] offset:13200
	s_waitcnt vmcnt(0) lgkmcnt(1)
	v_mul_f64 v[86:87], v[78:79], v[84:85]
	v_mul_f64 v[88:89], v[76:77], v[84:85]
	v_fma_f64 v[86:87], v[76:77], v[82:83], -v[86:87]
	v_fmac_f64_e32 v[88:89], v[78:79], v[82:83]
	ds_write_b128 v184, v[86:89] offset:14400
	s_and_saveexec_b64 s[8:9], vcc
	s_cbranch_execz .LBB0_13
; %bb.12:
	global_load_dwordx4 v[82:85], v[80:81], off offset:624
	ds_read_b128 v[76:79], v184 offset:624
	s_movk_i32 s2, 0x1000
	v_add_co_u32_e64 v90, s[2:3], s2, v80
	s_waitcnt vmcnt(0) lgkmcnt(0)
	v_mul_f64 v[86:87], v[78:79], v[84:85]
	v_mul_f64 v[88:89], v[76:77], v[84:85]
	v_fma_f64 v[86:87], v[76:77], v[82:83], -v[86:87]
	v_fmac_f64_e32 v[88:89], v[78:79], v[82:83]
	global_load_dwordx4 v[82:85], v[80:81], off offset:1824
	ds_read_b128 v[76:79], v184 offset:1824
	ds_write_b128 v184, v[86:89] offset:624
	v_addc_co_u32_e64 v91, s[2:3], 0, v81, s[2:3]
	s_movk_i32 s2, 0x2000
	s_waitcnt vmcnt(0) lgkmcnt(1)
	v_mul_f64 v[86:87], v[78:79], v[84:85]
	v_mul_f64 v[88:89], v[76:77], v[84:85]
	v_fma_f64 v[86:87], v[76:77], v[82:83], -v[86:87]
	v_fmac_f64_e32 v[88:89], v[78:79], v[82:83]
	global_load_dwordx4 v[82:85], v[80:81], off offset:3024
	ds_read_b128 v[76:79], v184 offset:3024
	ds_write_b128 v184, v[86:89] offset:1824
	s_waitcnt vmcnt(0) lgkmcnt(1)
	v_mul_f64 v[86:87], v[78:79], v[84:85]
	v_mul_f64 v[88:89], v[76:77], v[84:85]
	v_fma_f64 v[86:87], v[76:77], v[82:83], -v[86:87]
	v_fmac_f64_e32 v[88:89], v[78:79], v[82:83]
	global_load_dwordx4 v[82:85], v[90:91], off offset:128
	ds_read_b128 v[76:79], v184 offset:4224
	ds_write_b128 v184, v[86:89] offset:3024
	;; [unrolled: 8-line block ×4, first 2 shown]
	s_waitcnt vmcnt(0) lgkmcnt(1)
	v_mul_f64 v[86:87], v[78:79], v[84:85]
	v_mul_f64 v[88:89], v[76:77], v[84:85]
	v_fma_f64 v[86:87], v[76:77], v[82:83], -v[86:87]
	v_fmac_f64_e32 v[88:89], v[78:79], v[82:83]
	global_load_dwordx4 v[82:85], v[90:91], off offset:3728
	ds_read_b128 v[76:79], v184 offset:7824
	v_add_co_u32_e64 v90, s[2:3], s2, v80
	ds_write_b128 v184, v[86:89] offset:6624
	s_nop 0
	v_addc_co_u32_e64 v91, s[2:3], 0, v81, s[2:3]
	s_waitcnt vmcnt(0) lgkmcnt(1)
	v_mul_f64 v[86:87], v[78:79], v[84:85]
	v_mul_f64 v[88:89], v[76:77], v[84:85]
	v_fma_f64 v[86:87], v[76:77], v[82:83], -v[86:87]
	v_fmac_f64_e32 v[88:89], v[78:79], v[82:83]
	global_load_dwordx4 v[82:85], v[90:91], off offset:832
	ds_read_b128 v[76:79], v184 offset:9024
	ds_write_b128 v184, v[86:89] offset:7824
	s_waitcnt vmcnt(0) lgkmcnt(1)
	v_mul_f64 v[86:87], v[78:79], v[84:85]
	v_mul_f64 v[88:89], v[76:77], v[84:85]
	v_fma_f64 v[86:87], v[76:77], v[82:83], -v[86:87]
	v_fmac_f64_e32 v[88:89], v[78:79], v[82:83]
	global_load_dwordx4 v[82:85], v[90:91], off offset:2032
	ds_read_b128 v[76:79], v184 offset:10224
	ds_write_b128 v184, v[86:89] offset:9024
	;; [unrolled: 8-line block ×3, first 2 shown]
	s_waitcnt vmcnt(0) lgkmcnt(1)
	v_mul_f64 v[86:87], v[78:79], v[84:85]
	v_mul_f64 v[88:89], v[76:77], v[84:85]
	v_fma_f64 v[86:87], v[76:77], v[82:83], -v[86:87]
	v_fmac_f64_e32 v[88:89], v[78:79], v[82:83]
	ds_write_b128 v184, v[86:89] offset:11424
	v_add_co_u32_e64 v88, s[2:3], s12, v80
	ds_read_b128 v[76:79], v184 offset:12624
	s_nop 0
	v_addc_co_u32_e64 v89, s[2:3], 0, v81, s[2:3]
	global_load_dwordx4 v[80:83], v[88:89], off offset:336
	s_waitcnt vmcnt(0) lgkmcnt(0)
	v_mul_f64 v[84:85], v[78:79], v[82:83]
	v_mul_f64 v[86:87], v[76:77], v[82:83]
	v_fma_f64 v[84:85], v[76:77], v[80:81], -v[84:85]
	v_fmac_f64_e32 v[86:87], v[78:79], v[80:81]
	global_load_dwordx4 v[80:83], v[88:89], off offset:1536
	ds_read_b128 v[76:79], v184 offset:13824
	ds_write_b128 v184, v[84:87] offset:12624
	s_waitcnt vmcnt(0) lgkmcnt(1)
	v_mul_f64 v[84:85], v[78:79], v[82:83]
	v_mul_f64 v[86:87], v[76:77], v[82:83]
	v_fma_f64 v[84:85], v[76:77], v[80:81], -v[84:85]
	v_fmac_f64_e32 v[86:87], v[78:79], v[80:81]
	global_load_dwordx4 v[80:83], v[88:89], off offset:2736
	ds_read_b128 v[76:79], v184 offset:15024
	ds_write_b128 v184, v[84:87] offset:13824
	s_waitcnt vmcnt(0) lgkmcnt(1)
	v_mul_f64 v[84:85], v[78:79], v[82:83]
	v_mul_f64 v[86:87], v[76:77], v[82:83]
	v_fma_f64 v[84:85], v[76:77], v[80:81], -v[84:85]
	v_fmac_f64_e32 v[86:87], v[78:79], v[80:81]
	ds_write_b128 v184, v[84:87] offset:15024
.LBB0_13:
	s_or_b64 exec, exec, s[8:9]
	s_waitcnt lgkmcnt(0)
	s_barrier
	ds_read_b128 v[116:119], v184
	ds_read_b128 v[132:135], v184 offset:1200
	ds_read_b128 v[112:115], v184 offset:2400
	;; [unrolled: 1-line block ×12, first 2 shown]
	s_and_saveexec_b64 s[2:3], vcc
	s_cbranch_execz .LBB0_15
; %bb.14:
	v_lshl_add_u32 v32, v224, 4, v185
	ds_read_b128 v[36:39], v184 offset:624
	ds_read_b128 v[48:51], v32 offset:1824
	;; [unrolled: 1-line block ×13, first 2 shown]
.LBB0_15:
	s_or_b64 exec, exec, s[2:3]
	s_waitcnt lgkmcnt(11)
	v_add_f64 v[100:101], v[116:117], v[132:133]
	v_add_f64 v[102:103], v[118:119], v[134:135]
	s_waitcnt lgkmcnt(10)
	v_add_f64 v[100:101], v[100:101], v[112:113]
	v_add_f64 v[102:103], v[102:103], v[114:115]
	;; [unrolled: 3-line block ×9, first 2 shown]
	s_waitcnt lgkmcnt(2)
	v_add_f64 v[100:101], v[100:101], v[108:109]
	s_mov_b32 s44, 0x4267c47c
	s_mov_b32 s14, 0x42a4c3d2
	;; [unrolled: 1-line block ×6, first 2 shown]
	v_add_f64 v[102:103], v[102:103], v[110:111]
	s_waitcnt lgkmcnt(1)
	v_add_f64 v[100:101], v[100:101], v[120:121]
	s_waitcnt lgkmcnt(0)
	v_add_f64 v[142:143], v[134:135], v[138:139]
	v_add_f64 v[134:135], v[134:135], -v[138:139]
	s_mov_b32 s45, 0xbfddbe06
	s_mov_b32 s2, 0xe00740e9
	;; [unrolled: 1-line block ×12, first 2 shown]
	v_add_f64 v[102:103], v[102:103], v[122:123]
	v_add_f64 v[100:101], v[100:101], v[136:137]
	;; [unrolled: 1-line block ×3, first 2 shown]
	v_add_f64 v[132:133], v[132:133], -v[136:137]
	v_mul_f64 v[136:137], v[134:135], s[44:45]
	s_mov_b32 s3, 0x3fec55a7
	v_mul_f64 v[148:149], v[134:135], s[14:15]
	s_mov_b32 s9, 0x3fe22d96
	;; [unrolled: 2-line block ×6, first 2 shown]
	v_add_f64 v[102:103], v[102:103], v[138:139]
	v_fma_f64 v[138:139], s[2:3], v[140:141], v[136:137]
	v_fma_f64 v[136:137], v[140:141], s[2:3], -v[136:137]
	v_fma_f64 v[150:151], s[8:9], v[140:141], v[148:149]
	v_fma_f64 v[148:149], v[140:141], s[8:9], -v[148:149]
	;; [unrolled: 2-line block ×6, first 2 shown]
	v_add_f64 v[138:139], v[116:117], v[138:139]
	v_mul_f64 v[144:145], v[142:143], s[2:3]
	s_mov_b32 s13, 0x3fddbe06
	s_mov_b32 s12, s44
	v_add_f64 v[136:137], v[116:117], v[136:137]
	v_add_f64 v[150:151], v[116:117], v[150:151]
	v_mul_f64 v[152:153], v[142:143], s[8:9]
	s_mov_b32 s41, 0x3fea55e2
	s_mov_b32 s40, s14
	v_add_f64 v[148:149], v[116:117], v[148:149]
	;; [unrolled: 5-line block ×6, first 2 shown]
	v_add_f64 v[134:135], v[114:115], v[122:123]
	v_add_f64 v[114:115], v[114:115], -v[122:123]
	v_fma_f64 v[146:147], s[12:13], v[132:133], v[144:145]
	v_fmac_f64_e32 v[144:145], s[44:45], v[132:133]
	v_fma_f64 v[154:155], s[40:41], v[132:133], v[152:153]
	v_fmac_f64_e32 v[152:153], s[14:15], v[132:133]
	;; [unrolled: 2-line block ×6, first 2 shown]
	v_add_f64 v[132:133], v[112:113], v[120:121]
	v_add_f64 v[112:113], v[112:113], -v[120:121]
	v_mul_f64 v[120:121], v[114:115], s[14:15]
	v_fma_f64 v[122:123], s[8:9], v[132:133], v[120:121]
	v_add_f64 v[122:123], v[122:123], v[138:139]
	v_mul_f64 v[138:139], v[134:135], s[8:9]
	v_add_f64 v[144:145], v[118:119], v[144:145]
	v_fma_f64 v[140:141], s[40:41], v[112:113], v[138:139]
	v_fma_f64 v[120:121], v[132:133], s[8:9], -v[120:121]
	v_fmac_f64_e32 v[138:139], s[14:15], v[112:113]
	v_add_f64 v[120:121], v[120:121], v[136:137]
	v_add_f64 v[136:137], v[138:139], v[144:145]
	v_mul_f64 v[138:139], v[114:115], s[24:25]
	v_add_f64 v[146:147], v[118:119], v[146:147]
	v_add_f64 v[154:155], v[118:119], v[154:155]
	v_add_f64 v[152:153], v[118:119], v[152:153]
	v_add_f64 v[162:163], v[118:119], v[162:163]
	v_add_f64 v[160:161], v[118:119], v[160:161]
	v_add_f64 v[170:171], v[118:119], v[170:171]
	v_add_f64 v[168:169], v[118:119], v[168:169]
	v_add_f64 v[178:179], v[118:119], v[178:179]
	v_add_f64 v[176:177], v[118:119], v[176:177]
	v_add_f64 v[182:183], v[118:119], v[182:183]
	v_add_f64 v[118:119], v[118:119], v[142:143]
	v_fma_f64 v[142:143], s[18:19], v[132:133], v[138:139]
	v_mul_f64 v[144:145], v[134:135], s[18:19]
	v_fma_f64 v[138:139], v[132:133], s[18:19], -v[138:139]
	v_add_f64 v[140:141], v[140:141], v[146:147]
	v_fma_f64 v[146:147], s[36:37], v[112:113], v[144:145]
	v_add_f64 v[138:139], v[138:139], v[148:149]
	v_fmac_f64_e32 v[144:145], s[24:25], v[112:113]
	v_mul_f64 v[148:149], v[114:115], s[34:35]
	v_add_f64 v[142:143], v[142:143], v[150:151]
	v_add_f64 v[144:145], v[144:145], v[152:153]
	v_fma_f64 v[150:151], s[26:27], v[132:133], v[148:149]
	v_mul_f64 v[152:153], v[134:135], s[26:27]
	v_fma_f64 v[148:149], v[132:133], s[26:27], -v[148:149]
	v_add_f64 v[146:147], v[146:147], v[154:155]
	v_fma_f64 v[154:155], s[42:43], v[112:113], v[152:153]
	v_add_f64 v[148:149], v[148:149], v[156:157]
	v_fmac_f64_e32 v[152:153], s[34:35], v[112:113]
	v_mul_f64 v[156:157], v[114:115], s[28:29]
	v_add_f64 v[150:151], v[150:151], v[158:159]
	v_add_f64 v[152:153], v[152:153], v[160:161]
	;; [unrolled: 10-line block ×3, first 2 shown]
	v_fma_f64 v[166:167], s[16:17], v[132:133], v[164:165]
	v_mul_f64 v[168:169], v[134:135], s[16:17]
	v_mul_f64 v[134:135], v[134:135], s[2:3]
	v_add_f64 v[166:167], v[166:167], v[174:175]
	v_fma_f64 v[164:165], v[132:133], s[16:17], -v[164:165]
	v_mul_f64 v[114:115], v[114:115], s[12:13]
	v_fma_f64 v[174:175], s[44:45], v[112:113], v[134:135]
	v_fmac_f64_e32 v[134:135], s[12:13], v[112:113]
	v_add_f64 v[162:163], v[162:163], v[170:171]
	v_fma_f64 v[170:171], s[30:31], v[112:113], v[168:169]
	v_add_f64 v[164:165], v[164:165], v[172:173]
	v_fmac_f64_e32 v[168:169], s[20:21], v[112:113]
	v_fma_f64 v[172:173], s[2:3], v[132:133], v[114:115]
	v_fma_f64 v[114:115], v[132:133], s[2:3], -v[114:115]
	v_add_f64 v[112:113], v[134:135], v[118:119]
	v_add_f64 v[118:119], v[106:107], v[110:111]
	v_add_f64 v[106:107], v[106:107], -v[110:111]
	v_add_f64 v[114:115], v[114:115], v[116:117]
	v_add_f64 v[116:117], v[104:105], v[108:109]
	v_add_f64 v[104:105], v[104:105], -v[108:109]
	v_mul_f64 v[108:109], v[106:107], s[30:31]
	v_fma_f64 v[110:111], s[16:17], v[116:117], v[108:109]
	v_add_f64 v[110:111], v[110:111], v[122:123]
	v_mul_f64 v[122:123], v[118:119], s[16:17]
	v_fma_f64 v[132:133], s[20:21], v[104:105], v[122:123]
	v_fma_f64 v[108:109], v[116:117], s[16:17], -v[108:109]
	v_fmac_f64_e32 v[122:123], s[30:31], v[104:105]
	v_add_f64 v[108:109], v[108:109], v[120:121]
	v_add_f64 v[120:121], v[122:123], v[136:137]
	v_mul_f64 v[122:123], v[106:107], s[34:35]
	v_fma_f64 v[134:135], s[26:27], v[116:117], v[122:123]
	v_fma_f64 v[122:123], v[116:117], s[26:27], -v[122:123]
	v_mul_f64 v[136:137], v[118:119], s[26:27]
	v_add_f64 v[122:123], v[122:123], v[138:139]
	v_mul_f64 v[138:139], v[106:107], s[36:37]
	v_add_f64 v[132:133], v[132:133], v[140:141]
	v_add_f64 v[134:135], v[134:135], v[142:143]
	v_fma_f64 v[140:141], s[42:43], v[104:105], v[136:137]
	v_fmac_f64_e32 v[136:137], s[34:35], v[104:105]
	v_fma_f64 v[142:143], s[18:19], v[116:117], v[138:139]
	v_fma_f64 v[138:139], v[116:117], s[18:19], -v[138:139]
	v_add_f64 v[136:137], v[136:137], v[144:145]
	v_mul_f64 v[144:145], v[118:119], s[18:19]
	v_add_f64 v[138:139], v[138:139], v[148:149]
	v_mul_f64 v[148:149], v[106:107], s[12:13]
	v_add_f64 v[140:141], v[140:141], v[146:147]
	v_add_f64 v[142:143], v[142:143], v[150:151]
	v_fma_f64 v[146:147], s[24:25], v[104:105], v[144:145]
	v_fmac_f64_e32 v[144:145], s[36:37], v[104:105]
	v_fma_f64 v[150:151], s[2:3], v[116:117], v[148:149]
	v_fma_f64 v[148:149], v[116:117], s[2:3], -v[148:149]
	v_add_f64 v[144:145], v[144:145], v[152:153]
	v_mul_f64 v[152:153], v[118:119], s[2:3]
	v_add_f64 v[148:149], v[148:149], v[156:157]
	v_mul_f64 v[156:157], v[106:107], s[14:15]
	v_add_f64 v[146:147], v[146:147], v[154:155]
	v_add_f64 v[150:151], v[150:151], v[158:159]
	v_fma_f64 v[154:155], s[44:45], v[104:105], v[152:153]
	v_fmac_f64_e32 v[152:153], s[12:13], v[104:105]
	v_fma_f64 v[158:159], s[8:9], v[116:117], v[156:157]
	v_fma_f64 v[156:157], v[116:117], s[8:9], -v[156:157]
	v_mul_f64 v[106:107], v[106:107], s[38:39]
	v_add_f64 v[152:153], v[152:153], v[160:161]
	v_mul_f64 v[160:161], v[118:119], s[8:9]
	v_add_f64 v[156:157], v[156:157], v[164:165]
	v_fma_f64 v[164:165], s[22:23], v[116:117], v[106:107]
	v_mul_f64 v[118:119], v[118:119], s[22:23]
	v_fma_f64 v[106:107], v[116:117], s[22:23], -v[106:107]
	v_add_f64 v[158:159], v[158:159], v[166:167]
	v_fma_f64 v[166:167], s[28:29], v[104:105], v[118:119]
	v_add_f64 v[106:107], v[106:107], v[114:115]
	v_fmac_f64_e32 v[118:119], s[38:39], v[104:105]
	v_add_f64 v[114:115], v[94:95], v[98:99]
	v_add_f64 v[94:95], v[94:95], -v[98:99]
	v_add_f64 v[154:155], v[154:155], v[162:163]
	v_fma_f64 v[162:163], s[40:41], v[104:105], v[160:161]
	v_fmac_f64_e32 v[160:161], s[14:15], v[104:105]
	v_add_f64 v[104:105], v[118:119], v[112:113]
	v_add_f64 v[112:113], v[92:93], v[96:97]
	v_add_f64 v[92:93], v[92:93], -v[96:97]
	v_mul_f64 v[96:97], v[94:95], s[24:25]
	v_fma_f64 v[98:99], s[18:19], v[112:113], v[96:97]
	v_add_f64 v[98:99], v[98:99], v[110:111]
	v_mul_f64 v[110:111], v[114:115], s[18:19]
	v_fma_f64 v[116:117], s[36:37], v[92:93], v[110:111]
	v_fma_f64 v[96:97], v[112:113], s[18:19], -v[96:97]
	v_fmac_f64_e32 v[110:111], s[24:25], v[92:93]
	v_add_f64 v[96:97], v[96:97], v[108:109]
	v_add_f64 v[108:109], v[110:111], v[120:121]
	v_mul_f64 v[110:111], v[94:95], s[28:29]
	v_fma_f64 v[118:119], s[22:23], v[112:113], v[110:111]
	v_fma_f64 v[110:111], v[112:113], s[22:23], -v[110:111]
	v_mul_f64 v[120:121], v[114:115], s[22:23]
	v_add_f64 v[110:111], v[110:111], v[122:123]
	v_mul_f64 v[122:123], v[94:95], s[12:13]
	v_add_f64 v[116:117], v[116:117], v[132:133]
	v_add_f64 v[118:119], v[118:119], v[134:135]
	v_fma_f64 v[132:133], s[38:39], v[92:93], v[120:121]
	v_fmac_f64_e32 v[120:121], s[28:29], v[92:93]
	v_fma_f64 v[134:135], s[2:3], v[112:113], v[122:123]
	v_fma_f64 v[122:123], v[112:113], s[2:3], -v[122:123]
	v_add_f64 v[120:121], v[120:121], v[136:137]
	v_mul_f64 v[136:137], v[114:115], s[2:3]
	v_add_f64 v[122:123], v[122:123], v[138:139]
	v_mul_f64 v[138:139], v[94:95], s[30:31]
	v_add_f64 v[132:133], v[132:133], v[140:141]
	v_add_f64 v[134:135], v[134:135], v[142:143]
	v_fma_f64 v[140:141], s[44:45], v[92:93], v[136:137]
	v_fmac_f64_e32 v[136:137], s[12:13], v[92:93]
	v_fma_f64 v[142:143], s[16:17], v[112:113], v[138:139]
	v_fma_f64 v[138:139], v[112:113], s[16:17], -v[138:139]
	v_add_f64 v[136:137], v[136:137], v[144:145]
	v_mul_f64 v[144:145], v[114:115], s[16:17]
	v_add_f64 v[138:139], v[138:139], v[148:149]
	v_mul_f64 v[148:149], v[94:95], s[42:43]
	v_add_f64 v[140:141], v[140:141], v[146:147]
	v_add_f64 v[142:143], v[142:143], v[150:151]
	v_fma_f64 v[146:147], s[20:21], v[92:93], v[144:145]
	v_fmac_f64_e32 v[144:145], s[30:31], v[92:93]
	v_fma_f64 v[150:151], s[26:27], v[112:113], v[148:149]
	v_fma_f64 v[148:149], v[112:113], s[26:27], -v[148:149]
	v_mul_f64 v[94:95], v[94:95], s[40:41]
	v_add_f64 v[144:145], v[144:145], v[152:153]
	v_mul_f64 v[152:153], v[114:115], s[26:27]
	v_add_f64 v[148:149], v[148:149], v[156:157]
	v_fma_f64 v[156:157], s[8:9], v[112:113], v[94:95]
	v_mul_f64 v[114:115], v[114:115], s[8:9]
	v_fma_f64 v[94:95], v[112:113], s[8:9], -v[94:95]
	v_add_f64 v[150:151], v[150:151], v[158:159]
	v_fma_f64 v[158:159], s[14:15], v[92:93], v[114:115]
	v_add_f64 v[94:95], v[94:95], v[106:107]
	v_fmac_f64_e32 v[114:115], s[40:41], v[92:93]
	v_add_f64 v[106:107], v[86:87], v[90:91]
	v_add_f64 v[86:87], v[86:87], -v[90:91]
	v_add_f64 v[146:147], v[146:147], v[154:155]
	v_fma_f64 v[154:155], s[34:35], v[92:93], v[152:153]
	v_fmac_f64_e32 v[152:153], s[42:43], v[92:93]
	v_add_f64 v[92:93], v[114:115], v[104:105]
	v_add_f64 v[104:105], v[84:85], v[88:89]
	v_add_f64 v[84:85], v[84:85], -v[88:89]
	v_mul_f64 v[88:89], v[86:87], s[38:39]
	v_fma_f64 v[90:91], s[22:23], v[104:105], v[88:89]
	v_add_f64 v[90:91], v[90:91], v[98:99]
	v_mul_f64 v[98:99], v[106:107], s[22:23]
	v_fma_f64 v[112:113], s[28:29], v[84:85], v[98:99]
	v_fma_f64 v[88:89], v[104:105], s[22:23], -v[88:89]
	v_fmac_f64_e32 v[98:99], s[38:39], v[84:85]
	v_add_f64 v[88:89], v[88:89], v[96:97]
	v_add_f64 v[96:97], v[98:99], v[108:109]
	v_mul_f64 v[98:99], v[86:87], s[20:21]
	v_mul_f64 v[114:115], v[106:107], s[16:17]
	v_add_f64 v[112:113], v[112:113], v[116:117]
	v_fma_f64 v[108:109], s[16:17], v[104:105], v[98:99]
	v_fma_f64 v[116:117], s[30:31], v[84:85], v[114:115]
	v_fma_f64 v[98:99], v[104:105], s[16:17], -v[98:99]
	v_fmac_f64_e32 v[114:115], s[20:21], v[84:85]
	v_add_f64 v[98:99], v[98:99], v[110:111]
	v_add_f64 v[110:111], v[114:115], v[120:121]
	v_mul_f64 v[120:121], v[106:107], s[8:9]
	v_add_f64 v[116:117], v[116:117], v[132:133]
	v_mul_f64 v[114:115], v[86:87], s[14:15]
	v_fma_f64 v[132:133], s[40:41], v[84:85], v[120:121]
	v_fmac_f64_e32 v[120:121], s[14:15], v[84:85]
	v_add_f64 v[108:109], v[108:109], v[118:119]
	v_fma_f64 v[118:119], s[8:9], v[104:105], v[114:115]
	v_fma_f64 v[114:115], v[104:105], s[8:9], -v[114:115]
	v_add_f64 v[120:121], v[120:121], v[136:137]
	v_mul_f64 v[136:137], v[106:107], s[26:27]
	v_add_f64 v[170:171], v[170:171], v[178:179]
	v_add_f64 v[132:133], v[132:133], v[140:141]
	;; [unrolled: 1-line block ×3, first 2 shown]
	v_mul_f64 v[122:123], v[86:87], s[42:43]
	v_fma_f64 v[140:141], s[34:35], v[84:85], v[136:137]
	v_fmac_f64_e32 v[136:137], s[42:43], v[84:85]
	v_add_f64 v[168:169], v[168:169], v[176:177]
	v_add_f64 v[162:163], v[162:163], v[170:171]
	;; [unrolled: 1-line block ×3, first 2 shown]
	v_fma_f64 v[134:135], s[26:27], v[104:105], v[122:123]
	v_fma_f64 v[122:123], v[104:105], s[26:27], -v[122:123]
	v_add_f64 v[136:137], v[136:137], v[144:145]
	v_mul_f64 v[144:145], v[106:107], s[2:3]
	v_add_f64 v[160:161], v[160:161], v[168:169]
	v_add_f64 v[154:155], v[154:155], v[162:163]
	;; [unrolled: 1-line block ×4, first 2 shown]
	v_mul_f64 v[138:139], v[86:87], s[12:13]
	v_fma_f64 v[146:147], s[44:45], v[84:85], v[144:145]
	v_add_f64 v[152:153], v[152:153], v[160:161]
	v_add_f64 v[134:135], v[134:135], v[142:143]
	v_fma_f64 v[142:143], s[2:3], v[104:105], v[138:139]
	v_add_f64 v[146:147], v[146:147], v[154:155]
	v_fmac_f64_e32 v[144:145], s[12:13], v[84:85]
	v_mul_f64 v[106:107], v[106:107], s[18:19]
	v_add_f64 v[154:155], v[78:79], v[82:83]
	v_add_f64 v[78:79], v[78:79], -v[82:83]
	v_add_f64 v[142:143], v[142:143], v[150:151]
	v_fma_f64 v[138:139], v[104:105], s[2:3], -v[138:139]
	v_add_f64 v[144:145], v[144:145], v[152:153]
	v_mul_f64 v[86:87], v[86:87], s[24:25]
	v_fma_f64 v[150:151], s[36:37], v[84:85], v[106:107]
	v_fmac_f64_e32 v[106:107], s[24:25], v[84:85]
	v_add_f64 v[152:153], v[76:77], v[80:81]
	v_mul_f64 v[84:85], v[78:79], s[34:35]
	v_add_f64 v[138:139], v[138:139], v[148:149]
	v_fma_f64 v[148:149], s[18:19], v[104:105], v[86:87]
	v_fma_f64 v[86:87], v[104:105], s[18:19], -v[86:87]
	v_add_f64 v[106:107], v[106:107], v[92:93]
	v_add_f64 v[76:77], v[76:77], -v[80:81]
	v_fma_f64 v[80:81], s[26:27], v[152:153], v[84:85]
	v_fma_f64 v[84:85], v[152:153], s[26:27], -v[84:85]
	v_mul_f64 v[92:93], v[78:79], s[12:13]
	v_add_f64 v[104:105], v[86:87], v[94:95]
	v_mul_f64 v[86:87], v[154:155], s[26:27]
	v_add_f64 v[84:85], v[84:85], v[88:89]
	v_fma_f64 v[88:89], s[2:3], v[152:153], v[92:93]
	v_mul_f64 v[94:95], v[154:155], s[2:3]
	v_add_f64 v[80:81], v[80:81], v[90:91]
	v_fma_f64 v[82:83], s[42:43], v[76:77], v[86:87]
	v_fmac_f64_e32 v[86:87], s[34:35], v[76:77]
	v_add_f64 v[88:89], v[88:89], v[108:109]
	v_fma_f64 v[90:91], s[44:45], v[76:77], v[94:95]
	v_fmac_f64_e32 v[94:95], s[12:13], v[76:77]
	v_mul_f64 v[108:109], v[78:79], s[38:39]
	v_add_f64 v[86:87], v[86:87], v[96:97]
	v_fma_f64 v[92:93], v[152:153], s[2:3], -v[92:93]
	v_add_f64 v[94:95], v[94:95], v[110:111]
	v_fma_f64 v[96:97], s[22:23], v[152:153], v[108:109]
	v_mul_f64 v[110:111], v[154:155], s[22:23]
	v_fma_f64 v[108:109], v[152:153], s[22:23], -v[108:109]
	v_add_f64 v[92:93], v[92:93], v[98:99]
	v_fma_f64 v[98:99], s[28:29], v[76:77], v[110:111]
	v_add_f64 v[188:189], v[108:109], v[114:115]
	v_fmac_f64_e32 v[110:111], s[38:39], v[76:77]
	v_mul_f64 v[108:109], v[78:79], s[40:41]
	v_add_f64 v[190:191], v[110:111], v[120:121]
	v_fma_f64 v[110:111], s[8:9], v[152:153], v[108:109]
	v_add_f64 v[192:193], v[110:111], v[134:135]
	v_mul_f64 v[110:111], v[154:155], s[8:9]
	v_fma_f64 v[108:109], v[152:153], s[8:9], -v[108:109]
	v_add_f64 v[172:173], v[172:173], v[180:181]
	v_add_f64 v[82:83], v[82:83], v[112:113]
	v_fma_f64 v[112:113], s[14:15], v[76:77], v[110:111]
	v_add_f64 v[196:197], v[108:109], v[122:123]
	v_fmac_f64_e32 v[110:111], s[40:41], v[76:77]
	v_mul_f64 v[108:109], v[78:79], s[24:25]
	v_add_f64 v[164:165], v[164:165], v[172:173]
	v_add_f64 v[198:199], v[110:111], v[136:137]
	v_fma_f64 v[110:111], s[18:19], v[152:153], v[108:109]
	v_add_f64 v[156:157], v[156:157], v[164:165]
	v_add_f64 v[200:201], v[110:111], v[142:143]
	v_mul_f64 v[110:111], v[154:155], s[18:19]
	v_fma_f64 v[108:109], v[152:153], s[18:19], -v[108:109]
	v_mul_f64 v[78:79], v[78:79], s[20:21]
	v_add_f64 v[174:175], v[174:175], v[182:183]
	v_add_f64 v[148:149], v[148:149], v[156:157]
	;; [unrolled: 1-line block ×3, first 2 shown]
	v_fma_f64 v[112:113], s[36:37], v[76:77], v[110:111]
	v_add_f64 v[208:209], v[108:109], v[138:139]
	v_fma_f64 v[108:109], s[16:17], v[152:153], v[78:79]
	v_add_f64 v[166:167], v[166:167], v[174:175]
	v_add_f64 v[202:203], v[112:113], v[146:147]
	v_fmac_f64_e32 v[110:111], s[24:25], v[76:77]
	v_add_f64 v[212:213], v[108:109], v[148:149]
	v_mul_f64 v[108:109], v[154:155], s[16:17]
	v_fma_f64 v[78:79], v[152:153], s[16:17], -v[78:79]
	v_add_f64 v[146:147], v[50:51], -v[34:35]
	v_add_f64 v[158:159], v[158:159], v[166:167]
	v_add_f64 v[98:99], v[98:99], v[132:133]
	;; [unrolled: 1-line block ×3, first 2 shown]
	v_fma_f64 v[110:111], s[30:31], v[76:77], v[108:109]
	v_add_f64 v[216:217], v[78:79], v[104:105]
	v_fmac_f64_e32 v[108:109], s[20:21], v[76:77]
	v_add_f64 v[112:113], v[48:49], v[32:33]
	v_add_f64 v[132:133], v[50:51], v[34:35]
	v_mul_f64 v[104:105], v[146:147], s[44:45]
	v_add_f64 v[154:155], v[126:127], -v[70:71]
	v_add_f64 v[150:151], v[150:151], v[158:159]
	v_add_f64 v[96:97], v[96:97], v[118:119]
	v_add_f64 v[218:219], v[108:109], v[106:107]
	v_add_f64 v[158:159], v[48:49], -v[32:33]
	v_mul_f64 v[108:109], v[132:133], s[2:3]
	v_fma_f64 v[76:77], v[112:113], s[2:3], -v[104:105]
	v_add_f64 v[118:119], v[124:125], v[68:69]
	v_add_f64 v[140:141], v[126:127], v[70:71]
	v_mul_f64 v[106:107], v[154:155], s[14:15]
	v_add_f64 v[214:215], v[110:111], v[150:151]
	v_add_f64 v[76:77], v[36:37], v[76:77]
	v_fma_f64 v[78:79], s[44:45], v[158:159], v[108:109]
	v_add_f64 v[166:167], v[124:125], -v[68:69]
	v_mul_f64 v[114:115], v[140:141], s[8:9]
	v_fma_f64 v[110:111], v[118:119], s[8:9], -v[106:107]
	v_add_f64 v[78:79], v[38:39], v[78:79]
	v_add_f64 v[76:77], v[110:111], v[76:77]
	v_fma_f64 v[110:111], s[14:15], v[166:167], v[114:115]
	v_add_f64 v[162:163], v[130:131], -v[46:47]
	v_add_f64 v[78:79], v[110:111], v[78:79]
	v_add_f64 v[134:135], v[128:129], v[44:45]
	;; [unrolled: 1-line block ×3, first 2 shown]
	v_mul_f64 v[110:111], v[162:163], s[30:31]
	v_add_f64 v[90:91], v[90:91], v[116:117]
	v_add_f64 v[172:173], v[128:129], -v[44:45]
	v_mul_f64 v[120:121], v[148:149], s[16:17]
	v_fma_f64 v[116:117], v[134:135], s[16:17], -v[110:111]
	v_add_f64 v[76:77], v[116:117], v[76:77]
	v_fma_f64 v[116:117], s[30:31], v[172:173], v[120:121]
	v_add_f64 v[168:169], v[58:59], -v[74:75]
	v_add_f64 v[78:79], v[116:117], v[78:79]
	v_add_f64 v[144:145], v[56:57], v[72:73]
	v_add_f64 v[156:157], v[58:59], v[74:75]
	v_mul_f64 v[116:117], v[168:169], s[24:25]
	v_add_f64 v[176:177], v[56:57], -v[72:73]
	v_mul_f64 v[136:137], v[156:157], s[18:19]
	v_fma_f64 v[122:123], v[144:145], s[18:19], -v[116:117]
	v_add_f64 v[76:77], v[122:123], v[76:77]
	v_fma_f64 v[122:123], s[24:25], v[176:177], v[136:137]
	v_add_f64 v[174:175], v[42:43], -v[66:67]
	v_add_f64 v[78:79], v[122:123], v[78:79]
	v_add_f64 v[152:153], v[40:41], v[64:65]
	v_add_f64 v[164:165], v[42:43], v[66:67]
	v_mul_f64 v[122:123], v[174:175], s[38:39]
	;; [unrolled: 10-line block ×3, first 2 shown]
	v_add_f64 v[182:183], v[52:53], -v[60:61]
	v_mul_f64 v[150:151], v[170:171], s[26:27]
	v_fma_f64 v[220:221], v[160:161], s[26:27], -v[138:139]
	v_add_f64 v[76:77], v[220:221], v[76:77]
	v_fma_f64 v[220:221], s[34:35], v[182:183], v[150:151]
	v_add_f64 v[78:79], v[220:221], v[78:79]
	s_barrier
	ds_write_b128 v187, v[100:103]
	ds_write_b128 v187, v[80:83] offset:16
	ds_write_b128 v187, v[88:91] offset:32
	;; [unrolled: 1-line block ×12, first 2 shown]
	s_and_saveexec_b64 s[46:47], vcc
	s_cbranch_execz .LBB0_17
; %bb.16:
	v_mul_f64 v[80:81], v[112:113], s[2:3]
	v_accvgpr_write_b32 a245, v81
	v_accvgpr_write_b32 a244, v80
	v_mul_f64 v[80:81], v[158:159], s[44:45]
	v_accvgpr_write_b32 a255, v81
	v_accvgpr_write_b32 a254, v80
	;; [unrolled: 3-line block ×8, first 2 shown]
	v_mul_f64 v[80:81], v[152:153], s[22:23]
	v_mul_f64 v[188:189], v[158:159], s[34:35]
	v_accvgpr_write_b32 a253, v81
	v_mul_f64 v[96:97], v[166:167], s[12:13]
	v_fma_f64 v[190:191], s[26:27], v[132:133], v[188:189]
	v_mul_f64 v[202:203], v[146:147], s[34:35]
	v_accvgpr_write_b32 a252, v80
	v_mul_f64 v[80:81], v[180:181], s[38:39]
	v_mul_f64 v[92:93], v[172:173], s[38:39]
	v_fma_f64 v[98:99], s[2:3], v[140:141], v[96:97]
	v_add_f64 v[190:191], v[38:39], v[190:191]
	v_mul_f64 v[198:199], v[154:155], s[12:13]
	v_fma_f64 v[208:209], v[112:113], s[26:27], -v[202:203]
	v_accvgpr_write_b32 a50, v80
	v_mul_f64 v[88:89], v[176:177], s[40:41]
	v_fma_f64 v[94:95], s[22:23], v[148:149], v[92:93]
	v_add_f64 v[98:99], v[98:99], v[190:191]
	v_mul_f64 v[194:195], v[162:163], s[38:39]
	v_fma_f64 v[200:201], v[118:119], s[2:3], -v[198:199]
	v_add_f64 v[208:209], v[36:37], v[208:209]
	v_accvgpr_write_b32 a51, v81
	v_mul_f64 v[80:81], v[160:161], s[26:27]
	v_mul_f64 v[86:87], v[180:181], s[24:25]
	v_fma_f64 v[90:91], s[8:9], v[156:157], v[88:89]
	v_add_f64 v[94:95], v[94:95], v[98:99]
	v_mul_f64 v[190:191], v[168:169], s[40:41]
	v_fma_f64 v[196:197], v[134:135], s[22:23], -v[194:195]
	v_add_f64 v[200:201], v[200:201], v[208:209]
	v_accvgpr_write_b32 a147, v81
	v_mul_f64 v[84:85], v[182:183], s[20:21]
	v_fma_f64 v[82:83], s[18:19], v[164:165], v[86:87]
	v_add_f64 v[90:91], v[90:91], v[94:95]
	v_mul_f64 v[94:95], v[174:175], s[24:25]
	v_fma_f64 v[192:193], v[144:145], s[8:9], -v[190:191]
	v_add_f64 v[196:197], v[196:197], v[200:201]
	v_accvgpr_write_b32 a146, v80
	v_fma_f64 v[80:81], s[16:17], v[170:171], v[84:85]
	v_add_f64 v[82:83], v[82:83], v[90:91]
	v_mul_f64 v[90:91], v[178:179], s[20:21]
	v_fma_f64 v[98:99], v[152:153], s[18:19], -v[94:95]
	v_add_f64 v[192:193], v[192:193], v[196:197]
	v_add_f64 v[82:83], v[80:81], v[82:83]
	v_fma_f64 v[80:81], v[160:161], s[16:17], -v[90:91]
	v_add_f64 v[98:99], v[98:99], v[192:193]
	v_add_f64 v[80:81], v[80:81], v[98:99]
	v_fma_f64 v[98:99], v[132:133], s[26:27], -v[188:189]
	v_fma_f64 v[96:97], v[140:141], s[2:3], -v[96:97]
	v_add_f64 v[98:99], v[38:39], v[98:99]
	v_fma_f64 v[92:93], v[148:149], s[22:23], -v[92:93]
	v_add_f64 v[96:97], v[96:97], v[98:99]
	;; [unrolled: 2-line block ×5, first 2 shown]
	v_fmac_f64_e32 v[202:203], s[26:27], v[112:113]
	v_add_f64 v[86:87], v[84:85], v[86:87]
	v_fmac_f64_e32 v[198:199], s[2:3], v[118:119]
	v_add_f64 v[84:85], v[36:37], v[202:203]
	v_mul_f64 v[196:197], v[158:159], s[38:39]
	v_fmac_f64_e32 v[194:195], s[22:23], v[134:135]
	v_add_f64 v[84:85], v[198:199], v[84:85]
	v_mul_f64 v[192:193], v[166:167], s[20:21]
	v_fma_f64 v[198:199], s[22:23], v[132:133], v[196:197]
	v_mul_f64 v[214:215], v[146:147], s[38:39]
	v_fmac_f64_e32 v[190:191], s[8:9], v[144:145]
	v_add_f64 v[84:85], v[194:195], v[84:85]
	v_mul_f64 v[188:189], v[172:173], s[14:15]
	v_fma_f64 v[194:195], s[16:17], v[140:141], v[192:193]
	v_add_f64 v[198:199], v[38:39], v[198:199]
	v_mul_f64 v[210:211], v[154:155], s[20:21]
	v_fma_f64 v[216:217], v[112:113], s[22:23], -v[214:215]
	v_fmac_f64_e32 v[94:95], s[18:19], v[152:153]
	v_add_f64 v[84:85], v[190:191], v[84:85]
	v_mul_f64 v[96:97], v[176:177], s[42:43]
	v_fma_f64 v[190:191], s[8:9], v[148:149], v[188:189]
	v_add_f64 v[194:195], v[194:195], v[198:199]
	v_mul_f64 v[202:203], v[162:163], s[14:15]
	v_fma_f64 v[212:213], v[118:119], s[16:17], -v[210:211]
	v_add_f64 v[216:217], v[36:37], v[216:217]
	v_fmac_f64_e32 v[90:91], s[16:17], v[160:161]
	v_add_f64 v[84:85], v[94:95], v[84:85]
	v_mul_f64 v[94:95], v[180:181], s[12:13]
	v_fma_f64 v[98:99], s[26:27], v[156:157], v[96:97]
	v_add_f64 v[190:191], v[190:191], v[194:195]
	v_mul_f64 v[198:199], v[168:169], s[42:43]
	v_fma_f64 v[208:209], v[134:135], s[8:9], -v[202:203]
	v_add_f64 v[212:213], v[212:213], v[216:217]
	v_add_f64 v[84:85], v[90:91], v[84:85]
	v_mul_f64 v[92:93], v[182:183], s[24:25]
	v_fma_f64 v[90:91], s[2:3], v[164:165], v[94:95]
	v_add_f64 v[98:99], v[98:99], v[190:191]
	v_mul_f64 v[190:191], v[174:175], s[12:13]
	v_fma_f64 v[200:201], v[144:145], s[26:27], -v[198:199]
	v_add_f64 v[208:209], v[208:209], v[212:213]
	v_fma_f64 v[88:89], s[18:19], v[170:171], v[92:93]
	v_add_f64 v[90:91], v[90:91], v[98:99]
	v_mul_f64 v[98:99], v[178:179], s[24:25]
	v_fma_f64 v[194:195], v[152:153], s[2:3], -v[190:191]
	v_add_f64 v[200:201], v[200:201], v[208:209]
	v_add_f64 v[90:91], v[88:89], v[90:91]
	v_fma_f64 v[88:89], v[160:161], s[18:19], -v[98:99]
	v_add_f64 v[194:195], v[194:195], v[200:201]
	v_add_f64 v[88:89], v[88:89], v[194:195]
	v_fma_f64 v[194:195], v[132:133], s[22:23], -v[196:197]
	v_fma_f64 v[192:193], v[140:141], s[16:17], -v[192:193]
	v_add_f64 v[194:195], v[38:39], v[194:195]
	v_fma_f64 v[188:189], v[148:149], s[8:9], -v[188:189]
	v_add_f64 v[192:193], v[192:193], v[194:195]
	;; [unrolled: 2-line block ×5, first 2 shown]
	v_fmac_f64_e32 v[214:215], s[22:23], v[112:113]
	v_add_f64 v[94:95], v[92:93], v[94:95]
	v_fmac_f64_e32 v[210:211], s[16:17], v[118:119]
	v_add_f64 v[92:93], v[36:37], v[214:215]
	v_mul_f64 v[208:209], v[158:159], s[24:25]
	v_accvgpr_write_b32 a0, v222
	v_fmac_f64_e32 v[202:203], s[8:9], v[134:135]
	v_add_f64 v[92:93], v[210:211], v[92:93]
	v_mul_f64 v[200:201], v[166:167], s[28:29]
	v_fma_f64 v[210:211], s[18:19], v[132:133], v[208:209]
	v_accvgpr_write_b32 a1, v223
	v_mul_f64 v[222:223], v[146:147], s[24:25]
	v_fmac_f64_e32 v[198:199], s[26:27], v[144:145]
	v_add_f64 v[92:93], v[202:203], v[92:93]
	v_mul_f64 v[196:197], v[172:173], s[12:13]
	v_fma_f64 v[202:203], s[22:23], v[140:141], v[200:201]
	v_add_f64 v[210:211], v[38:39], v[210:211]
	v_mul_f64 v[218:219], v[154:155], s[28:29]
	v_fma_f64 v[102:103], v[112:113], s[18:19], -v[222:223]
	v_fmac_f64_e32 v[190:191], s[2:3], v[152:153]
	v_add_f64 v[92:93], v[198:199], v[92:93]
	v_mul_f64 v[192:193], v[176:177], s[30:31]
	v_fma_f64 v[198:199], s[2:3], v[148:149], v[196:197]
	v_add_f64 v[202:203], v[202:203], v[210:211]
	v_mul_f64 v[214:215], v[162:163], s[12:13]
	v_fma_f64 v[220:221], v[118:119], s[22:23], -v[218:219]
	v_add_f64 v[102:103], v[36:37], v[102:103]
	v_fmac_f64_e32 v[98:99], s[18:19], v[160:161]
	v_add_f64 v[92:93], v[190:191], v[92:93]
	v_mul_f64 v[190:191], v[180:181], s[42:43]
	v_fma_f64 v[194:195], s[16:17], v[156:157], v[192:193]
	v_add_f64 v[198:199], v[198:199], v[202:203]
	v_mul_f64 v[210:211], v[168:169], s[30:31]
	v_fma_f64 v[216:217], v[134:135], s[2:3], -v[214:215]
	v_add_f64 v[102:103], v[220:221], v[102:103]
	v_add_f64 v[92:93], v[98:99], v[92:93]
	v_mul_f64 v[188:189], v[182:183], s[40:41]
	v_fma_f64 v[98:99], s[26:27], v[164:165], v[190:191]
	v_add_f64 v[194:195], v[194:195], v[198:199]
	v_mul_f64 v[198:199], v[174:175], s[42:43]
	v_fma_f64 v[212:213], v[144:145], s[16:17], -v[210:211]
	v_add_f64 v[102:103], v[216:217], v[102:103]
	v_fma_f64 v[96:97], s[8:9], v[170:171], v[188:189]
	v_add_f64 v[98:99], v[98:99], v[194:195]
	v_mul_f64 v[194:195], v[178:179], s[40:41]
	v_fma_f64 v[202:203], v[152:153], s[26:27], -v[198:199]
	v_add_f64 v[102:103], v[212:213], v[102:103]
	v_add_f64 v[98:99], v[96:97], v[98:99]
	v_fma_f64 v[96:97], v[160:161], s[8:9], -v[194:195]
	v_add_f64 v[102:103], v[202:203], v[102:103]
	v_add_f64 v[96:97], v[96:97], v[102:103]
	v_fma_f64 v[102:103], v[170:171], s[8:9], -v[188:189]
	v_fma_f64 v[188:189], v[164:165], s[26:27], -v[190:191]
	;; [unrolled: 1-line block ×6, first 2 shown]
	v_add_f64 v[200:201], v[38:39], v[200:201]
	v_add_f64 v[196:197], v[196:197], v[200:201]
	;; [unrolled: 1-line block ×5, first 2 shown]
	v_fmac_f64_e32 v[222:223], s[18:19], v[112:113]
	v_add_f64 v[190:191], v[102:103], v[188:189]
	v_fmac_f64_e32 v[218:219], s[22:23], v[118:119]
	v_add_f64 v[102:103], v[36:37], v[222:223]
	;; [unrolled: 2-line block ×4, first 2 shown]
	v_mul_f64 v[214:215], v[158:159], s[30:31]
	v_accvgpr_write_b32 a6, v228
	v_add_f64 v[102:103], v[210:211], v[102:103]
	v_mul_f64 v[210:211], v[166:167], s[34:35]
	v_fma_f64 v[216:217], s[16:17], v[132:133], v[214:215]
	v_accvgpr_write_b32 a7, v229
	v_accvgpr_write_b32 a8, v230
	;; [unrolled: 1-line block ×3, first 2 shown]
	v_mul_f64 v[228:229], v[146:147], s[30:31]
	v_fmac_f64_e32 v[198:199], s[26:27], v[152:153]
	v_mul_f64 v[202:203], v[172:173], s[36:37]
	v_fma_f64 v[212:213], s[26:27], v[140:141], v[210:211]
	v_add_f64 v[216:217], v[38:39], v[216:217]
	v_accvgpr_write_b32 a2, v224
	v_accvgpr_write_b32 a149, v225
	v_mul_f64 v[224:225], v[154:155], s[34:35]
	v_fma_f64 v[230:231], v[112:113], s[16:17], -v[228:229]
	v_add_f64 v[102:103], v[198:199], v[102:103]
	v_mul_f64 v[198:199], v[176:177], s[12:13]
	v_fma_f64 v[208:209], s[18:19], v[148:149], v[202:203]
	v_add_f64 v[212:213], v[212:213], v[216:217]
	v_mul_f64 v[220:221], v[162:163], s[36:37]
	v_accvgpr_write_b32 a4, v226
	v_mov_b32_e32 v187, v227
	v_fma_f64 v[226:227], v[118:119], s[26:27], -v[224:225]
	v_add_f64 v[230:231], v[36:37], v[230:231]
	v_fmac_f64_e32 v[194:195], s[8:9], v[160:161]
	v_mul_f64 v[196:197], v[180:181], s[14:15]
	v_fma_f64 v[200:201], s[2:3], v[156:157], v[198:199]
	v_add_f64 v[208:209], v[208:209], v[212:213]
	v_mul_f64 v[216:217], v[168:169], s[12:13]
	v_fma_f64 v[222:223], v[134:135], s[18:19], -v[220:221]
	v_add_f64 v[226:227], v[226:227], v[230:231]
	v_add_f64 v[188:189], v[194:195], v[102:103]
	v_mul_f64 v[102:103], v[182:183], s[38:39]
	v_fma_f64 v[194:195], s[8:9], v[164:165], v[196:197]
	v_add_f64 v[200:201], v[200:201], v[208:209]
	v_mul_f64 v[208:209], v[174:175], s[14:15]
	v_fma_f64 v[218:219], v[144:145], s[2:3], -v[216:217]
	v_add_f64 v[222:223], v[222:223], v[226:227]
	v_fma_f64 v[192:193], s[22:23], v[170:171], v[102:103]
	v_add_f64 v[194:195], v[194:195], v[200:201]
	v_mul_f64 v[200:201], v[178:179], s[38:39]
	v_fma_f64 v[212:213], v[152:153], s[8:9], -v[208:209]
	v_add_f64 v[218:219], v[218:219], v[222:223]
	v_add_f64 v[194:195], v[192:193], v[194:195]
	v_fma_f64 v[192:193], v[160:161], s[22:23], -v[200:201]
	v_add_f64 v[212:213], v[212:213], v[218:219]
	v_add_f64 v[192:193], v[192:193], v[212:213]
	v_fma_f64 v[212:213], v[132:133], s[16:17], -v[214:215]
	v_fma_f64 v[210:211], v[140:141], s[26:27], -v[210:211]
	v_add_f64 v[212:213], v[38:39], v[212:213]
	v_mul_f64 v[158:159], v[158:159], s[14:15]
	v_fma_f64 v[202:203], v[148:149], s[18:19], -v[202:203]
	v_add_f64 v[210:211], v[210:211], v[212:213]
	v_mul_f64 v[166:167], v[166:167], s[24:25]
	v_fma_f64 v[212:213], s[8:9], v[132:133], v[158:159]
	v_add_f64 v[202:203], v[202:203], v[210:211]
	v_fma_f64 v[210:211], s[18:19], v[140:141], v[166:167]
	v_add_f64 v[212:213], v[38:39], v[212:213]
	v_mul_f64 v[154:155], v[154:155], s[24:25]
	v_fma_f64 v[198:199], v[156:157], s[2:3], -v[198:199]
	v_fmac_f64_e32 v[224:225], s[26:27], v[118:119]
	v_add_f64 v[210:211], v[210:211], v[212:213]
	v_fma_f64 v[212:213], v[118:119], s[18:19], -v[154:155]
	v_fmac_f64_e32 v[154:155], s[18:19], v[118:119]
	v_accvgpr_read_b32 v118, a216
	v_fma_f64 v[196:197], v[164:165], s[8:9], -v[196:197]
	v_add_f64 v[198:199], v[198:199], v[202:203]
	v_accvgpr_read_b32 v119, a217
	v_fma_f64 v[102:103], v[170:171], s[22:23], -v[102:103]
	v_add_f64 v[196:197], v[196:197], v[198:199]
	v_fmac_f64_e32 v[228:229], s[16:17], v[112:113]
	v_add_f64 v[118:119], v[120:121], -v[118:119]
	v_accvgpr_read_b32 v120, a214
	v_add_f64 v[198:199], v[102:103], v[196:197]
	v_add_f64 v[102:103], v[36:37], v[228:229]
	v_accvgpr_read_b32 v121, a215
	v_fmac_f64_e32 v[220:221], s[18:19], v[134:135]
	v_add_f64 v[102:103], v[224:225], v[102:103]
	v_add_f64 v[114:115], v[114:115], -v[120:121]
	v_accvgpr_read_b32 v120, a254
	v_fmac_f64_e32 v[216:217], s[2:3], v[144:145]
	v_add_f64 v[102:103], v[220:221], v[102:103]
	v_accvgpr_read_b32 v121, a255
	v_fmac_f64_e32 v[208:209], s[8:9], v[152:153]
	v_add_f64 v[102:103], v[216:217], v[102:103]
	v_mul_f64 v[172:173], v[172:173], s[34:35]
	v_mul_f64 v[214:215], v[146:147], s[14:15]
	v_add_f64 v[108:109], v[108:109], -v[120:121]
	v_add_f64 v[102:103], v[208:209], v[102:103]
	v_mul_f64 v[202:203], v[176:177], s[28:29]
	v_fma_f64 v[208:209], s[26:27], v[148:149], v[172:173]
	v_fma_f64 v[146:147], v[112:113], s[8:9], -v[214:215]
	v_add_f64 v[108:109], v[38:39], v[108:109]
	v_fmac_f64_e32 v[200:201], s[22:23], v[160:161]
	v_mul_f64 v[180:181], v[180:181], s[20:21]
	v_fma_f64 v[176:177], s[22:23], v[156:157], v[202:203]
	v_add_f64 v[208:209], v[208:209], v[210:211]
	v_mul_f64 v[162:163], v[162:163], s[34:35]
	v_add_f64 v[146:147], v[36:37], v[146:147]
	v_add_f64 v[108:109], v[114:115], v[108:109]
	v_accvgpr_read_b32 v114, a248
	v_add_f64 v[196:197], v[200:201], v[102:103]
	v_fma_f64 v[200:201], s[16:17], v[164:165], v[180:181]
	v_add_f64 v[176:177], v[176:177], v[208:209]
	v_mul_f64 v[168:169], v[168:169], s[28:29]
	v_fma_f64 v[210:211], v[134:135], s[26:27], -v[162:163]
	v_add_f64 v[146:147], v[212:213], v[146:147]
	v_fma_f64 v[132:133], v[132:133], s[8:9], -v[158:159]
	v_accvgpr_read_b32 v115, a249
	v_mul_f64 v[102:103], v[182:183], s[12:13]
	v_add_f64 v[176:177], v[200:201], v[176:177]
	v_mul_f64 v[200:201], v[174:175], s[20:21]
	v_fma_f64 v[208:209], v[144:145], s[22:23], -v[168:169]
	v_add_f64 v[146:147], v[210:211], v[146:147]
	v_fma_f64 v[140:141], v[140:141], s[18:19], -v[166:167]
	v_add_f64 v[132:133], v[38:39], v[132:133]
	v_add_f64 v[110:111], v[114:115], v[110:111]
	v_accvgpr_read_b32 v114, a246
	v_mul_f64 v[100:101], v[182:183], s[34:35]
	v_fma_f64 v[182:183], s[2:3], v[170:171], v[102:103]
	v_mul_f64 v[178:179], v[178:179], s[12:13]
	v_fma_f64 v[174:175], v[152:153], s[16:17], -v[200:201]
	v_add_f64 v[146:147], v[208:209], v[146:147]
	v_fma_f64 v[148:149], v[148:149], s[26:27], -v[172:173]
	v_add_f64 v[132:133], v[140:141], v[132:133]
	v_accvgpr_read_b32 v115, a247
	v_add_f64 v[176:177], v[182:183], v[176:177]
	v_fma_f64 v[182:183], v[160:161], s[2:3], -v[178:179]
	v_add_f64 v[146:147], v[174:175], v[146:147]
	v_fma_f64 v[156:157], v[156:157], s[22:23], -v[202:203]
	v_add_f64 v[132:133], v[148:149], v[132:133]
	v_add_f64 v[106:107], v[114:115], v[106:107]
	v_accvgpr_read_b32 v114, a244
	v_add_f64 v[174:175], v[182:183], v[146:147]
	v_fma_f64 v[146:147], v[164:165], s[16:17], -v[180:181]
	v_add_f64 v[132:133], v[156:157], v[132:133]
	v_accvgpr_read_b32 v115, a245
	v_fma_f64 v[102:103], v[170:171], s[2:3], -v[102:103]
	v_add_f64 v[132:133], v[146:147], v[132:133]
	v_fmac_f64_e32 v[214:215], s[8:9], v[112:113]
	v_add_f64 v[104:105], v[114:115], v[104:105]
	v_add_f64 v[146:147], v[102:103], v[132:133]
	;; [unrolled: 1-line block ×6, first 2 shown]
	v_fmac_f64_e32 v[162:163], s[26:27], v[134:135]
	v_add_f64 v[102:103], v[154:155], v[102:103]
	v_add_f64 v[38:39], v[38:39], v[126:127]
	v_add_f64 v[36:37], v[36:37], v[124:125]
	v_fmac_f64_e32 v[168:169], s[22:23], v[144:145]
	v_add_f64 v[102:103], v[162:163], v[102:103]
	v_add_f64 v[38:39], v[38:39], v[130:131]
	v_add_f64 v[36:37], v[36:37], v[128:129]
	;; [unrolled: 4-line block ×3, first 2 shown]
	v_fmac_f64_e32 v[178:179], s[2:3], v[160:161]
	v_add_f64 v[102:103], v[200:201], v[102:103]
	v_accvgpr_read_b32 v112, a218
	v_add_f64 v[38:39], v[38:39], v[42:43]
	v_add_f64 v[36:37], v[36:37], v[40:41]
	;; [unrolled: 1-line block ×3, first 2 shown]
	v_accvgpr_read_b32 v103, a51
	v_accvgpr_read_b32 v113, a219
	v_add_f64 v[38:39], v[38:39], v[54:55]
	v_add_f64 v[36:37], v[36:37], v[52:53]
	v_accvgpr_read_b32 v102, a50
	v_add_f64 v[112:113], v[136:137], -v[112:113]
	v_add_f64 v[108:109], v[118:119], v[108:109]
	v_add_f64 v[38:39], v[38:39], v[62:63]
	;; [unrolled: 1-line block ×3, first 2 shown]
	v_add_f64 v[102:103], v[142:143], -v[102:103]
	v_add_f64 v[108:109], v[112:113], v[108:109]
	v_accvgpr_read_b32 v112, a250
	v_add_f64 v[38:39], v[38:39], v[66:67]
	v_add_f64 v[36:37], v[36:37], v[64:65]
	v_add_f64 v[100:101], v[150:151], -v[100:101]
	v_add_f64 v[102:103], v[102:103], v[108:109]
	v_accvgpr_read_b32 v108, a252
	v_accvgpr_read_b32 v113, a251
	v_add_f64 v[104:105], v[106:107], v[104:105]
	v_add_f64 v[38:39], v[38:39], v[74:75]
	;; [unrolled: 1-line block ×4, first 2 shown]
	v_accvgpr_read_b32 v100, a146
	v_accvgpr_read_b32 v109, a253
	v_add_f64 v[112:113], v[112:113], v[116:117]
	v_add_f64 v[104:105], v[110:111], v[104:105]
	;; [unrolled: 1-line block ×4, first 2 shown]
	v_accvgpr_read_b32 v223, a1
	v_accvgpr_read_b32 v231, a9
	;; [unrolled: 1-line block ×3, first 2 shown]
	v_add_f64 v[108:109], v[108:109], v[122:123]
	v_add_f64 v[104:105], v[112:113], v[104:105]
	;; [unrolled: 1-line block ×4, first 2 shown]
	v_accvgpr_read_b32 v226, a4
	v_accvgpr_read_b32 v222, a0
	v_accvgpr_read_b32 v230, a8
	v_accvgpr_read_b32 v229, a7
	v_accvgpr_read_b32 v228, a6
	v_accvgpr_read_b32 v225, a149
	v_accvgpr_read_b32 v224, a2
	v_add_f64 v[100:101], v[100:101], v[138:139]
	v_add_f64 v[104:105], v[108:109], v[104:105]
	;; [unrolled: 1-line block ×4, first 2 shown]
	v_lshl_add_u32 v36, v187, 4, v185
	v_add_f64 v[100:101], v[100:101], v[104:105]
	ds_write_b128 v36, v[32:35]
	ds_write_b128 v36, v[100:103] offset:16
	ds_write_b128 v36, v[144:147] offset:32
	;; [unrolled: 1-line block ×12, first 2 shown]
.LBB0_17:
	s_or_b64 exec, exec, s[46:47]
	v_accvgpr_read_b32 v105, a81
	v_accvgpr_read_b32 v104, a80
	s_waitcnt lgkmcnt(0)
	s_barrier
	ds_read_b128 v[36:39], v184
	ds_read_b128 v[40:43], v184 offset:624
	ds_read_b128 v[32:35], v184 offset:6240
	;; [unrolled: 1-line block ×24, first 2 shown]
	v_accvgpr_read_b32 v103, a79
	v_accvgpr_read_b32 v102, a78
	s_waitcnt lgkmcnt(8)
	v_mul_f64 v[100:101], v[104:105], v[94:95]
	v_fmac_f64_e32 v[100:101], v[102:103], v[92:93]
	v_mul_f64 v[92:93], v[104:105], v[92:93]
	v_fma_f64 v[104:105], v[102:103], v[94:95], -v[92:93]
	v_accvgpr_read_b32 v95, a77
	v_accvgpr_read_b32 v94, a76
	;; [unrolled: 1-line block ×4, first 2 shown]
	v_mul_f64 v[164:165], v[94:95], v[34:35]
	v_fmac_f64_e32 v[164:165], v[92:93], v[32:33]
	v_mul_f64 v[32:33], v[94:95], v[32:33]
	v_fma_f64 v[166:167], v[92:93], v[34:35], -v[32:33]
	v_accvgpr_read_b32 v95, a73
	v_accvgpr_read_b32 v94, a72
	;; [unrolled: 1-line block ×4, first 2 shown]
	s_waitcnt lgkmcnt(4)
	v_mul_f64 v[168:169], v[94:95], v[98:99]
	v_mul_f64 v[32:33], v[94:95], v[96:97]
	v_fmac_f64_e32 v[168:169], v[92:93], v[96:97]
	v_fma_f64 v[170:171], v[92:93], v[98:99], -v[32:33]
	v_accvgpr_read_b32 v95, a69
	v_accvgpr_read_b32 v94, a68
	v_accvgpr_read_b32 v93, a67
	v_accvgpr_read_b32 v92, a66
	v_mul_f64 v[172:173], v[94:95], v[62:63]
	v_mul_f64 v[32:33], v[94:95], v[60:61]
	v_fmac_f64_e32 v[172:173], v[92:93], v[60:61]
	v_fma_f64 v[174:175], v[92:93], v[62:63], -v[32:33]
	v_accvgpr_read_b32 v60, a62
	v_accvgpr_read_b32 v62, a64
	v_accvgpr_read_b32 v63, a65
	v_accvgpr_read_b32 v61, a63
	;; [unrolled: 8-line block ×10, first 2 shown]
	v_mul_f64 v[118:119], v[58:59], v[138:139]
	v_mul_f64 v[32:33], v[58:59], v[136:137]
	v_fmac_f64_e32 v[118:119], v[56:57], v[136:137]
	v_fma_f64 v[32:33], v[56:57], v[138:139], -v[32:33]
	v_accvgpr_read_b32 v56, a98
	v_accvgpr_read_b32 v58, a100
	;; [unrolled: 1-line block ×3, first 2 shown]
	v_mul_f64 v[122:123], v[58:59], v[126:127]
	v_mul_f64 v[34:35], v[58:59], v[124:125]
	v_accvgpr_read_b32 v58, a126
	v_accvgpr_read_b32 v57, a99
	;; [unrolled: 1-line block ×4, first 2 shown]
	v_fmac_f64_e32 v[122:123], v[56:57], v[124:125]
	v_fma_f64 v[34:35], v[56:57], v[126:127], -v[34:35]
	v_accvgpr_read_b32 v59, a127
	s_waitcnt lgkmcnt(2)
	v_mul_f64 v[144:145], v[60:61], v[142:143]
	v_mul_f64 v[56:57], v[60:61], v[140:141]
	v_fmac_f64_e32 v[144:145], v[58:59], v[140:141]
	v_fma_f64 v[140:141], v[58:59], v[142:143], -v[56:57]
	v_accvgpr_read_b32 v58, a118
	v_accvgpr_read_b32 v60, a120
	v_accvgpr_read_b32 v61, a121
	v_accvgpr_read_b32 v59, a119
	v_mul_f64 v[146:147], v[60:61], v[134:135]
	v_mul_f64 v[56:57], v[60:61], v[132:133]
	v_fmac_f64_e32 v[146:147], v[58:59], v[132:133]
	v_fma_f64 v[142:143], v[58:59], v[134:135], -v[56:57]
	v_accvgpr_read_b32 v58, a122
	v_accvgpr_read_b32 v60, a124
	v_accvgpr_read_b32 v61, a125
	v_accvgpr_read_b32 v59, a123
	;; [unrolled: 8-line block ×4, first 2 shown]
	s_waitcnt lgkmcnt(1)
	v_mul_f64 v[136:137], v[60:61], v[158:159]
	v_mul_f64 v[56:57], v[60:61], v[156:157]
	v_fmac_f64_e32 v[136:137], v[58:59], v[156:157]
	v_fma_f64 v[128:129], v[58:59], v[158:159], -v[56:57]
	v_accvgpr_read_b32 v58, a138
	v_accvgpr_read_b32 v60, a140
	;; [unrolled: 1-line block ×4, first 2 shown]
	s_waitcnt lgkmcnt(0)
	v_mul_f64 v[56:57], v[60:61], v[160:161]
	v_fma_f64 v[130:131], v[58:59], v[162:163], -v[56:57]
	v_add_f64 v[56:57], v[36:37], v[100:101]
	v_add_f64 v[56:57], v[56:57], v[164:165]
	;; [unrolled: 1-line block ×3, first 2 shown]
	v_mul_f64 v[138:139], v[60:61], v[162:163]
	v_add_f64 v[60:61], v[56:57], v[172:173]
	v_add_f64 v[56:57], v[164:165], v[168:169]
	s_mov_b32 s8, 0x134454ff
	v_fmac_f64_e32 v[138:139], v[58:59], v[160:161]
	v_fma_f64 v[56:57], -0.5, v[56:57], v[36:37]
	v_add_f64 v[58:59], v[104:105], -v[174:175]
	s_mov_b32 s9, 0xbfee6f0e
	s_mov_b32 s2, 0x4755a5e
	s_mov_b32 s15, 0x3fee6f0e
	s_mov_b32 s14, s8
	v_fma_f64 v[64:65], s[8:9], v[58:59], v[56:57]
	v_add_f64 v[62:63], v[166:167], -v[170:171]
	s_mov_b32 s3, 0xbfe2cf23
	v_add_f64 v[66:67], v[100:101], -v[164:165]
	v_add_f64 v[68:69], v[172:173], -v[168:169]
	s_mov_b32 s12, 0x372fe950
	v_fmac_f64_e32 v[56:57], s[14:15], v[58:59]
	s_mov_b32 s17, 0x3fe2cf23
	s_mov_b32 s16, s2
	v_fmac_f64_e32 v[64:65], s[2:3], v[62:63]
	v_add_f64 v[66:67], v[66:67], v[68:69]
	s_mov_b32 s13, 0x3fd3c6ef
	v_fmac_f64_e32 v[56:57], s[16:17], v[62:63]
	v_fmac_f64_e32 v[64:65], s[12:13], v[66:67]
	;; [unrolled: 1-line block ×3, first 2 shown]
	v_add_f64 v[66:67], v[100:101], v[172:173]
	v_fmac_f64_e32 v[36:37], -0.5, v[66:67]
	v_fma_f64 v[68:69], s[14:15], v[62:63], v[36:37]
	v_fmac_f64_e32 v[36:37], s[8:9], v[62:63]
	v_fmac_f64_e32 v[68:69], s[2:3], v[58:59]
	;; [unrolled: 1-line block ×3, first 2 shown]
	v_add_f64 v[58:59], v[38:39], v[104:105]
	v_add_f64 v[58:59], v[58:59], v[166:167]
	;; [unrolled: 1-line block ×3, first 2 shown]
	v_add_f64 v[66:67], v[164:165], -v[100:101]
	v_add_f64 v[70:71], v[168:169], -v[172:173]
	v_add_f64 v[62:63], v[58:59], v[174:175]
	v_add_f64 v[58:59], v[166:167], v[170:171]
	;; [unrolled: 1-line block ×3, first 2 shown]
	v_fma_f64 v[58:59], -0.5, v[58:59], v[38:39]
	v_add_f64 v[72:73], v[100:101], -v[172:173]
	v_fmac_f64_e32 v[68:69], s[12:13], v[66:67]
	v_fmac_f64_e32 v[36:37], s[12:13], v[66:67]
	v_fma_f64 v[66:67], s[14:15], v[72:73], v[58:59]
	v_add_f64 v[74:75], v[164:165], -v[168:169]
	v_add_f64 v[70:71], v[104:105], -v[166:167]
	;; [unrolled: 1-line block ×3, first 2 shown]
	v_fmac_f64_e32 v[58:59], s[8:9], v[72:73]
	v_fmac_f64_e32 v[66:67], s[16:17], v[74:75]
	v_add_f64 v[70:71], v[70:71], v[80:81]
	v_fmac_f64_e32 v[58:59], s[2:3], v[74:75]
	v_fmac_f64_e32 v[66:67], s[12:13], v[70:71]
	;; [unrolled: 1-line block ×3, first 2 shown]
	v_add_f64 v[70:71], v[104:105], v[174:175]
	v_fmac_f64_e32 v[38:39], -0.5, v[70:71]
	v_fma_f64 v[70:71], s[8:9], v[74:75], v[38:39]
	v_fmac_f64_e32 v[38:39], s[14:15], v[74:75]
	v_fmac_f64_e32 v[70:71], s[16:17], v[72:73]
	;; [unrolled: 1-line block ×3, first 2 shown]
	v_add_f64 v[72:73], v[40:41], v[176:177]
	v_add_f64 v[80:81], v[166:167], -v[104:105]
	v_add_f64 v[82:83], v[170:171], -v[174:175]
	v_add_f64 v[72:73], v[72:73], v[178:179]
	v_add_f64 v[80:81], v[80:81], v[82:83]
	v_add_f64 v[72:73], v[72:73], v[180:181]
	v_fmac_f64_e32 v[70:71], s[12:13], v[80:81]
	v_fmac_f64_e32 v[38:39], s[12:13], v[80:81]
	v_add_f64 v[80:81], v[72:73], v[182:183]
	v_add_f64 v[72:73], v[178:179], v[180:181]
	v_fma_f64 v[72:73], -0.5, v[72:73], v[40:41]
	v_add_f64 v[74:75], v[92:93], -v[98:99]
	v_fma_f64 v[84:85], s[8:9], v[74:75], v[72:73]
	v_add_f64 v[82:83], v[94:95], -v[96:97]
	v_add_f64 v[86:87], v[176:177], -v[178:179]
	v_add_f64 v[88:89], v[182:183], -v[180:181]
	v_fmac_f64_e32 v[72:73], s[14:15], v[74:75]
	v_fmac_f64_e32 v[84:85], s[2:3], v[82:83]
	v_add_f64 v[86:87], v[86:87], v[88:89]
	v_fmac_f64_e32 v[72:73], s[16:17], v[82:83]
	v_fmac_f64_e32 v[84:85], s[12:13], v[86:87]
	v_fmac_f64_e32 v[72:73], s[12:13], v[86:87]
	v_add_f64 v[86:87], v[176:177], v[182:183]
	v_fmac_f64_e32 v[40:41], -0.5, v[86:87]
	v_fma_f64 v[88:89], s[14:15], v[82:83], v[40:41]
	v_fmac_f64_e32 v[40:41], s[8:9], v[82:83]
	v_fmac_f64_e32 v[88:89], s[2:3], v[74:75]
	v_fmac_f64_e32 v[40:41], s[16:17], v[74:75]
	v_add_f64 v[74:75], v[42:43], v[92:93]
	v_add_f64 v[74:75], v[74:75], v[94:95]
	v_add_f64 v[74:75], v[74:75], v[96:97]
	v_add_f64 v[86:87], v[178:179], -v[176:177]
	v_add_f64 v[90:91], v[180:181], -v[182:183]
	v_add_f64 v[82:83], v[74:75], v[98:99]
	v_add_f64 v[74:75], v[94:95], v[96:97]
	v_add_f64 v[86:87], v[86:87], v[90:91]
	v_fma_f64 v[74:75], -0.5, v[74:75], v[42:43]
	v_add_f64 v[100:101], v[176:177], -v[182:183]
	v_fmac_f64_e32 v[88:89], s[12:13], v[86:87]
	v_fmac_f64_e32 v[40:41], s[12:13], v[86:87]
	v_fma_f64 v[86:87], s[14:15], v[100:101], v[74:75]
	v_add_f64 v[104:105], v[178:179], -v[180:181]
	v_add_f64 v[90:91], v[92:93], -v[94:95]
	v_add_f64 v[148:149], v[98:99], -v[96:97]
	v_fmac_f64_e32 v[74:75], s[8:9], v[100:101]
	v_fmac_f64_e32 v[86:87], s[16:17], v[104:105]
	v_add_f64 v[90:91], v[90:91], v[148:149]
	v_fmac_f64_e32 v[74:75], s[2:3], v[104:105]
	v_fmac_f64_e32 v[86:87], s[12:13], v[90:91]
	v_fmac_f64_e32 v[74:75], s[12:13], v[90:91]
	v_add_f64 v[90:91], v[92:93], v[98:99]
	v_fmac_f64_e32 v[42:43], -0.5, v[90:91]
	v_fma_f64 v[90:91], s[8:9], v[104:105], v[42:43]
	v_add_f64 v[92:93], v[94:95], -v[92:93]
	v_add_f64 v[94:95], v[96:97], -v[98:99]
	v_fmac_f64_e32 v[42:43], s[14:15], v[104:105]
	v_fmac_f64_e32 v[90:91], s[16:17], v[100:101]
	v_add_f64 v[92:93], v[92:93], v[94:95]
	v_fmac_f64_e32 v[42:43], s[2:3], v[100:101]
	v_fmac_f64_e32 v[90:91], s[12:13], v[92:93]
	v_fmac_f64_e32 v[42:43], s[12:13], v[92:93]
	v_add_f64 v[92:93], v[48:49], v[102:103]
	v_add_f64 v[92:93], v[92:93], v[106:107]
	v_add_f64 v[92:93], v[92:93], v[116:117]
	v_add_f64 v[96:97], v[92:93], v[120:121]
	v_add_f64 v[92:93], v[106:107], v[116:117]
	v_fma_f64 v[92:93], -0.5, v[92:93], v[48:49]
	v_add_f64 v[94:95], v[108:109], -v[114:115]
	v_fma_f64 v[100:101], s[8:9], v[94:95], v[92:93]
	v_add_f64 v[98:99], v[110:111], -v[112:113]
	v_add_f64 v[104:105], v[102:103], -v[106:107]
	v_add_f64 v[148:149], v[120:121], -v[116:117]
	v_fmac_f64_e32 v[92:93], s[14:15], v[94:95]
	v_fmac_f64_e32 v[100:101], s[2:3], v[98:99]
	v_add_f64 v[104:105], v[104:105], v[148:149]
	v_fmac_f64_e32 v[92:93], s[16:17], v[98:99]
	v_fmac_f64_e32 v[100:101], s[12:13], v[104:105]
	v_fmac_f64_e32 v[92:93], s[12:13], v[104:105]
	v_add_f64 v[104:105], v[102:103], v[120:121]
	v_fmac_f64_e32 v[48:49], -0.5, v[104:105]
	v_fma_f64 v[104:105], s[14:15], v[98:99], v[48:49]
	v_fmac_f64_e32 v[48:49], s[8:9], v[98:99]
	v_fmac_f64_e32 v[104:105], s[2:3], v[94:95]
	v_fmac_f64_e32 v[48:49], s[16:17], v[94:95]
	v_add_f64 v[94:95], v[50:51], v[108:109]
	v_add_f64 v[94:95], v[94:95], v[110:111]
	v_add_f64 v[94:95], v[94:95], v[112:113]
	v_add_f64 v[148:149], v[106:107], -v[102:103]
	v_add_f64 v[150:151], v[116:117], -v[120:121]
	v_add_f64 v[98:99], v[94:95], v[114:115]
	v_add_f64 v[94:95], v[110:111], v[112:113]
	v_add_f64 v[148:149], v[148:149], v[150:151]
	v_fma_f64 v[94:95], -0.5, v[94:95], v[50:51]
	v_add_f64 v[120:121], v[102:103], -v[120:121]
	v_fmac_f64_e32 v[104:105], s[12:13], v[148:149]
	v_fmac_f64_e32 v[48:49], s[12:13], v[148:149]
	v_fma_f64 v[102:103], s[14:15], v[120:121], v[94:95]
	v_add_f64 v[116:117], v[106:107], -v[116:117]
	v_add_f64 v[106:107], v[108:109], -v[110:111]
	v_add_f64 v[148:149], v[114:115], -v[112:113]
	v_fmac_f64_e32 v[94:95], s[8:9], v[120:121]
	v_fmac_f64_e32 v[102:103], s[16:17], v[116:117]
	v_add_f64 v[106:107], v[106:107], v[148:149]
	v_fmac_f64_e32 v[94:95], s[2:3], v[116:117]
	v_fmac_f64_e32 v[102:103], s[12:13], v[106:107]
	v_fmac_f64_e32 v[94:95], s[12:13], v[106:107]
	v_add_f64 v[106:107], v[108:109], v[114:115]
	v_fmac_f64_e32 v[50:51], -0.5, v[106:107]
	v_fma_f64 v[106:107], s[8:9], v[116:117], v[50:51]
	v_add_f64 v[108:109], v[110:111], -v[108:109]
	v_add_f64 v[110:111], v[112:113], -v[114:115]
	v_fmac_f64_e32 v[50:51], s[14:15], v[116:117]
	v_fmac_f64_e32 v[106:107], s[16:17], v[120:121]
	v_add_f64 v[108:109], v[108:109], v[110:111]
	v_fmac_f64_e32 v[50:51], s[2:3], v[120:121]
	v_fmac_f64_e32 v[106:107], s[12:13], v[108:109]
	v_fmac_f64_e32 v[50:51], s[12:13], v[108:109]
	v_add_f64 v[108:109], v[44:45], v[118:119]
	v_add_f64 v[108:109], v[108:109], v[122:123]
	v_add_f64 v[108:109], v[108:109], v[144:145]
	;; [unrolled: 56-line block ×3, first 2 shown]
	v_add_f64 v[140:141], v[32:33], v[138:139]
	v_add_f64 v[32:33], v[134:135], v[136:137]
	v_fma_f64 v[32:33], -0.5, v[32:33], v[52:53]
	v_add_f64 v[34:35], v[124:125], -v[130:131]
	v_fma_f64 v[144:145], s[8:9], v[34:35], v[32:33]
	v_add_f64 v[142:143], v[126:127], -v[128:129]
	v_add_f64 v[146:147], v[132:133], -v[134:135]
	;; [unrolled: 1-line block ×3, first 2 shown]
	v_fmac_f64_e32 v[32:33], s[14:15], v[34:35]
	v_fmac_f64_e32 v[144:145], s[2:3], v[142:143]
	v_add_f64 v[146:147], v[146:147], v[148:149]
	v_fmac_f64_e32 v[32:33], s[16:17], v[142:143]
	v_fmac_f64_e32 v[144:145], s[12:13], v[146:147]
	;; [unrolled: 1-line block ×3, first 2 shown]
	v_add_f64 v[146:147], v[132:133], v[138:139]
	v_fmac_f64_e32 v[52:53], -0.5, v[146:147]
	v_fma_f64 v[148:149], s[14:15], v[142:143], v[52:53]
	v_fmac_f64_e32 v[52:53], s[8:9], v[142:143]
	v_fmac_f64_e32 v[148:149], s[2:3], v[34:35]
	;; [unrolled: 1-line block ×3, first 2 shown]
	v_add_f64 v[34:35], v[54:55], v[124:125]
	v_add_f64 v[34:35], v[34:35], v[126:127]
	;; [unrolled: 1-line block ×3, first 2 shown]
	v_add_f64 v[146:147], v[134:135], -v[132:133]
	v_add_f64 v[150:151], v[136:137], -v[138:139]
	v_add_f64 v[142:143], v[34:35], v[130:131]
	v_add_f64 v[34:35], v[126:127], v[128:129]
	;; [unrolled: 1-line block ×3, first 2 shown]
	v_fma_f64 v[34:35], -0.5, v[34:35], v[54:55]
	v_add_f64 v[132:133], v[132:133], -v[138:139]
	v_fmac_f64_e32 v[148:149], s[12:13], v[146:147]
	v_fmac_f64_e32 v[52:53], s[12:13], v[146:147]
	v_fma_f64 v[146:147], s[14:15], v[132:133], v[34:35]
	v_add_f64 v[134:135], v[134:135], -v[136:137]
	v_add_f64 v[136:137], v[124:125], -v[126:127]
	;; [unrolled: 1-line block ×3, first 2 shown]
	v_fmac_f64_e32 v[34:35], s[8:9], v[132:133]
	v_fmac_f64_e32 v[146:147], s[16:17], v[134:135]
	v_add_f64 v[136:137], v[136:137], v[138:139]
	v_fmac_f64_e32 v[34:35], s[2:3], v[134:135]
	v_fmac_f64_e32 v[146:147], s[12:13], v[136:137]
	;; [unrolled: 1-line block ×3, first 2 shown]
	v_add_f64 v[136:137], v[124:125], v[130:131]
	v_fmac_f64_e32 v[54:55], -0.5, v[136:137]
	v_fma_f64 v[150:151], s[8:9], v[134:135], v[54:55]
	v_add_f64 v[124:125], v[126:127], -v[124:125]
	v_add_f64 v[126:127], v[128:129], -v[130:131]
	v_fmac_f64_e32 v[54:55], s[14:15], v[134:135]
	v_fmac_f64_e32 v[150:151], s[16:17], v[132:133]
	v_add_f64 v[124:125], v[124:125], v[126:127]
	v_fmac_f64_e32 v[54:55], s[2:3], v[132:133]
	v_fmac_f64_e32 v[150:151], s[12:13], v[124:125]
	;; [unrolled: 1-line block ×3, first 2 shown]
	s_barrier
	scratch_load_dword v124, off, off       ; 4-byte Folded Reload
	s_waitcnt vmcnt(0)
	ds_write_b128 v124, v[60:63]
	ds_write_b128 v124, v[64:67] offset:208
	ds_write_b128 v124, v[68:71] offset:416
	ds_write_b128 v124, v[36:39] offset:624
	ds_write_b128 v124, v[56:59] offset:832
	scratch_load_dword v36, off, off offset:4 ; 4-byte Folded Reload
	s_waitcnt vmcnt(0)
	ds_write_b128 v36, v[80:83]
	ds_write_b128 v36, v[84:87] offset:208
	ds_write_b128 v36, v[88:91] offset:416
	ds_write_b128 v36, v[40:43] offset:624
	ds_write_b128 v36, v[72:75] offset:832
	scratch_load_dword v36, off, off offset:8 ; 4-byte Folded Reload
	;; [unrolled: 7-line block ×4, first 2 shown]
	s_waitcnt vmcnt(0)
	ds_write_b128 v36, v[140:143]
	ds_write_b128 v36, v[144:147] offset:208
	ds_write_b128 v36, v[148:151] offset:416
	;; [unrolled: 1-line block ×4, first 2 shown]
	s_waitcnt lgkmcnt(0)
	s_barrier
	ds_read_b128 v[64:67], v184
	ds_read_b128 v[60:63], v184 offset:624
	ds_read_b128 v[132:135], v184 offset:5200
	;; [unrolled: 1-line block ×23, first 2 shown]
	s_and_saveexec_b64 s[2:3], s[0:1]
	s_cbranch_execz .LBB0_19
; %bb.18:
	ds_read_b128 v[32:35], v184 offset:4992
	ds_read_b128 v[76:79], v184 offset:10192
	;; [unrolled: 1-line block ×3, first 2 shown]
.LBB0_19:
	s_or_b64 exec, exec, s[2:3]
	v_accvgpr_read_b32 v142, a154
	v_accvgpr_read_b32 v144, a156
	;; [unrolled: 1-line block ×4, first 2 shown]
	s_waitcnt lgkmcnt(14)
	v_mul_f64 v[140:141], v[144:145], v[134:135]
	v_fmac_f64_e32 v[140:141], v[142:143], v[132:133]
	v_mul_f64 v[132:133], v[144:145], v[132:133]
	v_fma_f64 v[132:133], v[142:143], v[134:135], -v[132:133]
	v_accvgpr_read_b32 v142, a150
	v_accvgpr_read_b32 v144, a152
	v_accvgpr_read_b32 v145, a153
	v_accvgpr_read_b32 v143, a151
	v_mul_f64 v[134:135], v[144:145], v[130:131]
	v_fmac_f64_e32 v[134:135], v[142:143], v[128:129]
	v_mul_f64 v[128:129], v[144:145], v[128:129]
	v_fma_f64 v[128:129], v[142:143], v[130:131], -v[128:129]
	v_accvgpr_read_b32 v142, a162
	v_accvgpr_read_b32 v144, a164
	v_accvgpr_read_b32 v145, a165
	v_accvgpr_read_b32 v143, a163
	;; [unrolled: 8-line block ×5, first 2 shown]
	s_waitcnt lgkmcnt(13)
	v_mul_f64 v[122:123], v[144:145], v[114:115]
	v_fmac_f64_e32 v[122:123], v[142:143], v[112:113]
	v_mul_f64 v[112:113], v[144:145], v[112:113]
	v_fma_f64 v[112:113], v[142:143], v[114:115], -v[112:113]
	v_accvgpr_read_b32 v142, a178
	v_accvgpr_read_b32 v144, a180
	;; [unrolled: 1-line block ×4, first 2 shown]
	v_mul_f64 v[114:115], v[144:145], v[110:111]
	v_fmac_f64_e32 v[114:115], v[142:143], v[108:109]
	v_mul_f64 v[108:109], v[144:145], v[108:109]
	v_fma_f64 v[108:109], v[142:143], v[110:111], -v[108:109]
	v_accvgpr_read_b32 v142, a174
	v_accvgpr_read_b32 v144, a176
	;; [unrolled: 1-line block ×4, first 2 shown]
	s_waitcnt lgkmcnt(12)
	v_mul_f64 v[110:111], v[144:145], v[102:103]
	v_fmac_f64_e32 v[110:111], v[142:143], v[100:101]
	v_mul_f64 v[100:101], v[144:145], v[100:101]
	v_accvgpr_read_b32 v144, a186
	v_accvgpr_read_b32 v146, a188
	;; [unrolled: 1-line block ×3, first 2 shown]
	v_fma_f64 v[102:103], v[142:143], v[102:103], -v[100:101]
	v_accvgpr_read_b32 v145, a187
	s_waitcnt lgkmcnt(9)
	v_mul_f64 v[142:143], v[146:147], v[106:107]
	v_mul_f64 v[100:101], v[146:147], v[104:105]
	v_fmac_f64_e32 v[142:143], v[144:145], v[104:105]
	v_fma_f64 v[144:145], v[144:145], v[106:107], -v[100:101]
	v_accvgpr_read_b32 v104, a182
	v_accvgpr_read_b32 v106, a184
	;; [unrolled: 1-line block ×4, first 2 shown]
	s_waitcnt lgkmcnt(7)
	v_mul_f64 v[146:147], v[106:107], v[98:99]
	v_fmac_f64_e32 v[146:147], v[104:105], v[96:97]
	v_mul_f64 v[96:97], v[106:107], v[96:97]
	v_fma_f64 v[148:149], v[104:105], v[98:99], -v[96:97]
	v_accvgpr_read_b32 v96, a194
	v_accvgpr_read_b32 v98, a196
	;; [unrolled: 1-line block ×4, first 2 shown]
	v_mul_f64 v[150:151], v[98:99], v[94:95]
	v_fmac_f64_e32 v[150:151], v[96:97], v[92:93]
	v_mul_f64 v[92:93], v[98:99], v[92:93]
	v_fma_f64 v[152:153], v[96:97], v[94:95], -v[92:93]
	v_accvgpr_read_b32 v92, a190
	v_accvgpr_read_b32 v94, a192
	;; [unrolled: 1-line block ×4, first 2 shown]
	s_waitcnt lgkmcnt(6)
	v_mul_f64 v[154:155], v[94:95], v[86:87]
	v_fmac_f64_e32 v[154:155], v[92:93], v[84:85]
	v_mul_f64 v[84:85], v[94:95], v[84:85]
	v_fma_f64 v[156:157], v[92:93], v[86:87], -v[84:85]
	v_accvgpr_read_b32 v92, a202
	v_accvgpr_read_b32 v94, a204
	;; [unrolled: 1-line block ×4, first 2 shown]
	s_waitcnt lgkmcnt(3)
	v_mul_f64 v[84:85], v[94:95], v[88:89]
	v_fma_f64 v[160:161], v[92:93], v[90:91], -v[84:85]
	v_accvgpr_read_b32 v84, a198
	v_accvgpr_read_b32 v86, a200
	;; [unrolled: 1-line block ×4, first 2 shown]
	s_waitcnt lgkmcnt(1)
	v_mul_f64 v[162:163], v[86:87], v[82:83]
	v_fmac_f64_e32 v[162:163], v[84:85], v[80:81]
	v_mul_f64 v[80:81], v[86:87], v[80:81]
	v_fma_f64 v[164:165], v[84:85], v[82:83], -v[80:81]
	v_accvgpr_read_b32 v80, a210
	v_accvgpr_read_b32 v82, a212
	;; [unrolled: 1-line block ×4, first 2 shown]
	v_mul_f64 v[166:167], v[82:83], v[74:75]
	v_fmac_f64_e32 v[166:167], v[80:81], v[72:73]
	v_mul_f64 v[72:73], v[82:83], v[72:73]
	v_fma_f64 v[168:169], v[80:81], v[74:75], -v[72:73]
	v_accvgpr_read_b32 v72, a206
	v_accvgpr_read_b32 v74, a208
	;; [unrolled: 1-line block ×4, first 2 shown]
	s_waitcnt lgkmcnt(0)
	v_mul_f64 v[170:171], v[74:75], v[70:71]
	v_fmac_f64_e32 v[170:171], v[72:73], v[68:69]
	v_mul_f64 v[68:69], v[74:75], v[68:69]
	v_fma_f64 v[172:173], v[72:73], v[70:71], -v[68:69]
	v_add_f64 v[70:71], v[140:141], v[134:135]
	s_mov_b32 s2, 0xe8584caa
	v_add_f64 v[68:69], v[64:65], v[140:141]
	v_fmac_f64_e32 v[64:65], -0.5, v[70:71]
	v_add_f64 v[70:71], v[132:133], -v[128:129]
	s_mov_b32 s3, 0xbfebb67a
	s_mov_b32 s9, 0x3febb67a
	;; [unrolled: 1-line block ×3, first 2 shown]
	v_fma_f64 v[72:73], s[2:3], v[70:71], v[64:65]
	v_fmac_f64_e32 v[64:65], s[8:9], v[70:71]
	v_add_f64 v[70:71], v[66:67], v[132:133]
	v_add_f64 v[74:75], v[132:133], v[128:129]
	;; [unrolled: 1-line block ×4, first 2 shown]
	v_fmac_f64_e32 v[66:67], -0.5, v[74:75]
	v_add_f64 v[80:81], v[140:141], -v[134:135]
	v_fma_f64 v[74:75], s[8:9], v[80:81], v[66:67]
	v_fmac_f64_e32 v[66:67], s[2:3], v[80:81]
	s_barrier
	ds_write_b128 v184, v[68:71]
	ds_write_b128 v184, v[72:75] offset:1040
	ds_write_b128 v184, v[64:67] offset:2080
	scratch_load_dword v64, off, off offset:20 ; 4-byte Folded Reload
	v_add_f64 v[82:83], v[130:131], v[126:127]
	v_mul_f64 v[158:159], v[94:95], v[90:91]
	v_add_f64 v[80:81], v[60:61], v[130:131]
	v_fmac_f64_e32 v[60:61], -0.5, v[82:83]
	v_add_f64 v[82:83], v[124:125], -v[116:117]
	v_add_f64 v[86:87], v[124:125], v[116:117]
	v_fmac_f64_e32 v[158:159], v[92:93], v[88:89]
	v_fma_f64 v[84:85], s[2:3], v[82:83], v[60:61]
	v_fmac_f64_e32 v[60:61], s[8:9], v[82:83]
	v_add_f64 v[82:83], v[62:63], v[124:125]
	v_fmac_f64_e32 v[62:63], -0.5, v[86:87]
	v_add_f64 v[88:89], v[130:131], -v[126:127]
	v_add_f64 v[90:91], v[118:119], v[122:123]
	v_fma_f64 v[86:87], s[8:9], v[88:89], v[62:63]
	v_fmac_f64_e32 v[62:63], s[2:3], v[88:89]
	v_add_f64 v[88:89], v[56:57], v[118:119]
	v_fmac_f64_e32 v[56:57], -0.5, v[90:91]
	v_add_f64 v[90:91], v[120:121], -v[112:113]
	v_add_f64 v[94:95], v[120:121], v[112:113]
	v_add_f64 v[80:81], v[80:81], v[126:127]
	v_add_f64 v[82:83], v[82:83], v[116:117]
	v_fma_f64 v[92:93], s[2:3], v[90:91], v[56:57]
	v_fmac_f64_e32 v[56:57], s[8:9], v[90:91]
	v_add_f64 v[90:91], v[58:59], v[120:121]
	v_fmac_f64_e32 v[58:59], -0.5, v[94:95]
	v_add_f64 v[96:97], v[118:119], -v[122:123]
	v_add_f64 v[88:89], v[88:89], v[122:123]
	v_add_f64 v[90:91], v[90:91], v[112:113]
	v_fma_f64 v[94:95], s[8:9], v[96:97], v[58:59]
	v_fmac_f64_e32 v[58:59], s[2:3], v[96:97]
	s_waitcnt vmcnt(0)
	ds_write_b128 v64, v[80:83]
	ds_write_b128 v64, v[84:87] offset:1040
	ds_write_b128 v64, v[60:63] offset:2080
	;; [unrolled: 1-line block ×5, first 2 shown]
	scratch_load_dword v56, off, off offset:24 ; 4-byte Folded Reload
	v_add_f64 v[98:99], v[114:115], v[110:111]
	v_add_f64 v[96:97], v[52:53], v[114:115]
	v_fmac_f64_e32 v[52:53], -0.5, v[98:99]
	v_add_f64 v[98:99], v[108:109], -v[102:103]
	v_fma_f64 v[100:101], s[2:3], v[98:99], v[52:53]
	v_fmac_f64_e32 v[52:53], s[8:9], v[98:99]
	v_add_f64 v[98:99], v[54:55], v[108:109]
	v_add_f64 v[98:99], v[98:99], v[102:103]
	;; [unrolled: 1-line block ×4, first 2 shown]
	v_fmac_f64_e32 v[54:55], -0.5, v[102:103]
	v_add_f64 v[104:105], v[114:115], -v[110:111]
	v_fma_f64 v[102:103], s[8:9], v[104:105], v[54:55]
	v_fmac_f64_e32 v[54:55], s[2:3], v[104:105]
	s_waitcnt vmcnt(0)
	ds_write_b128 v56, v[96:99]
	ds_write_b128 v56, v[100:103] offset:1040
	ds_write_b128 v56, v[52:55] offset:2080
	scratch_load_dword v52, off, off offset:28 ; 4-byte Folded Reload
	v_add_f64 v[106:107], v[142:143], v[146:147]
	v_add_f64 v[104:105], v[48:49], v[142:143]
	v_fmac_f64_e32 v[48:49], -0.5, v[106:107]
	v_add_f64 v[106:107], v[144:145], -v[148:149]
	v_add_f64 v[110:111], v[144:145], v[148:149]
	v_fma_f64 v[108:109], s[2:3], v[106:107], v[48:49]
	v_fmac_f64_e32 v[48:49], s[8:9], v[106:107]
	v_add_f64 v[106:107], v[50:51], v[144:145]
	v_fmac_f64_e32 v[50:51], -0.5, v[110:111]
	v_add_f64 v[112:113], v[142:143], -v[146:147]
	v_add_f64 v[114:115], v[150:151], v[154:155]
	v_fma_f64 v[110:111], s[8:9], v[112:113], v[50:51]
	v_fmac_f64_e32 v[50:51], s[2:3], v[112:113]
	;; [unrolled: 6-line block ×4, first 2 shown]
	v_add_f64 v[120:121], v[40:41], v[158:159]
	v_fmac_f64_e32 v[40:41], -0.5, v[122:123]
	v_add_f64 v[122:123], v[160:161], -v[164:165]
	v_add_f64 v[126:127], v[160:161], v[164:165]
	v_add_f64 v[104:105], v[104:105], v[146:147]
	v_add_f64 v[106:107], v[106:107], v[148:149]
	v_fma_f64 v[124:125], s[2:3], v[122:123], v[40:41]
	v_fmac_f64_e32 v[40:41], s[8:9], v[122:123]
	v_add_f64 v[122:123], v[42:43], v[160:161]
	v_fmac_f64_e32 v[42:43], -0.5, v[126:127]
	v_add_f64 v[128:129], v[158:159], -v[162:163]
	v_add_f64 v[130:131], v[166:167], v[170:171]
	v_add_f64 v[112:113], v[112:113], v[154:155]
	v_add_f64 v[114:115], v[114:115], v[156:157]
	v_fma_f64 v[126:127], s[8:9], v[128:129], v[42:43]
	v_fmac_f64_e32 v[42:43], s[2:3], v[128:129]
	v_add_f64 v[128:129], v[36:37], v[166:167]
	v_fmac_f64_e32 v[36:37], -0.5, v[130:131]
	v_add_f64 v[130:131], v[168:169], -v[172:173]
	s_waitcnt vmcnt(0)
	ds_write_b128 v52, v[104:107] offset:6240
	ds_write_b128 v52, v[108:111] offset:7280
	ds_write_b128 v52, v[48:51] offset:8320
	v_accvgpr_read_b32 v48, a3
	v_add_f64 v[120:121], v[120:121], v[162:163]
	v_add_f64 v[122:123], v[122:123], v[164:165]
	v_fma_f64 v[132:133], s[2:3], v[130:131], v[36:37]
	v_fmac_f64_e32 v[36:37], s[8:9], v[130:131]
	v_add_f64 v[130:131], v[38:39], v[168:169]
	v_add_f64 v[134:135], v[168:169], v[172:173]
	ds_write_b128 v48, v[112:115] offset:9360
	ds_write_b128 v48, v[116:119] offset:10400
	;; [unrolled: 1-line block ×3, first 2 shown]
	v_accvgpr_read_b32 v44, a5
	v_add_u32_e32 v138, 0x4e0, v186
	v_add_u32_e32 v137, 0x750, v186
	;; [unrolled: 1-line block ×3, first 2 shown]
	v_add_f64 v[128:129], v[128:129], v[170:171]
	v_add_f64 v[130:131], v[130:131], v[172:173]
	v_fmac_f64_e32 v[38:39], -0.5, v[134:135]
	v_add_f64 v[140:141], v[166:167], -v[170:171]
	ds_write_b128 v44, v[120:123]
	ds_write_b128 v44, v[124:127] offset:1040
	ds_write_b128 v44, v[40:43] offset:2080
	v_accvgpr_read_b32 v40, a148
	v_fma_f64 v[134:135], s[8:9], v[140:141], v[38:39]
	v_fmac_f64_e32 v[38:39], s[2:3], v[140:141]
	ds_write_b128 v40, v[128:131] offset:12480
	ds_write_b128 v40, v[132:135] offset:13520
	;; [unrolled: 1-line block ×3, first 2 shown]
	s_and_saveexec_b64 s[12:13], s[0:1]
	s_cbranch_execz .LBB0_21
; %bb.20:
	v_accvgpr_read_b32 v44, a134
	v_accvgpr_read_b32 v46, a136
	v_accvgpr_read_b32 v47, a137
	v_accvgpr_read_b32 v50, a130
	v_accvgpr_read_b32 v45, a135
	v_mul_f64 v[36:37], v[46:47], v[76:77]
	v_accvgpr_read_b32 v52, a132
	v_accvgpr_read_b32 v53, a133
	v_fma_f64 v[38:39], v[44:45], v[78:79], -v[36:37]
	v_accvgpr_read_b32 v51, a131
	v_mul_f64 v[36:37], v[52:53], v[204:205]
	v_fma_f64 v[42:43], v[50:51], v[206:207], -v[36:37]
	v_mul_f64 v[46:47], v[46:47], v[78:79]
	v_mul_f64 v[48:49], v[52:53], v[206:207]
	v_add_f64 v[36:37], v[38:39], v[42:43]
	v_fmac_f64_e32 v[46:47], v[44:45], v[76:77]
	v_fmac_f64_e32 v[48:49], v[50:51], v[204:205]
	v_fma_f64 v[36:37], -0.5, v[36:37], v[34:35]
	v_add_f64 v[44:45], v[46:47], -v[48:49]
	v_add_f64 v[34:35], v[34:35], v[38:39]
	v_fma_f64 v[40:41], s[2:3], v[44:45], v[36:37]
	v_fmac_f64_e32 v[36:37], s[8:9], v[44:45]
	v_add_f64 v[44:45], v[34:35], v[42:43]
	v_add_f64 v[34:35], v[46:47], v[48:49]
	v_fma_f64 v[34:35], -0.5, v[34:35], v[32:33]
	v_add_f64 v[42:43], v[38:39], -v[42:43]
	v_add_f64 v[32:33], v[32:33], v[46:47]
	v_fma_f64 v[38:39], s[8:9], v[42:43], v[34:35]
	v_fmac_f64_e32 v[34:35], s[2:3], v[42:43]
	v_add_f64 v[42:43], v[32:33], v[48:49]
	ds_write_b128 v225, v[42:45] offset:12480
	ds_write_b128 v225, v[34:37] offset:13520
	;; [unrolled: 1-line block ×3, first 2 shown]
.LBB0_21:
	s_or_b64 exec, exec, s[12:13]
	v_accvgpr_read_b32 v114, a232
	v_accvgpr_read_b32 v116, a234
	;; [unrolled: 1-line block ×3, first 2 shown]
	s_waitcnt lgkmcnt(0)
	s_barrier
	ds_read_b128 v[32:35], v184
	ds_read_b128 v[36:39], v184 offset:624
	ds_read_b128 v[52:55], v184 offset:6240
	;; [unrolled: 1-line block ×24, first 2 shown]
	v_accvgpr_read_b32 v115, a233
	s_waitcnt lgkmcnt(8)
	v_mul_f64 v[134:135], v[116:117], v[104:105]
	v_fmac_f64_e32 v[134:135], v[114:115], v[102:103]
	v_mul_f64 v[102:103], v[116:117], v[102:103]
	v_fma_f64 v[148:149], v[114:115], v[104:105], -v[102:103]
	v_accvgpr_read_b32 v102, a228
	v_accvgpr_read_b32 v104, a230
	;; [unrolled: 1-line block ×4, first 2 shown]
	v_mul_f64 v[150:151], v[104:105], v[54:55]
	v_fmac_f64_e32 v[150:151], v[102:103], v[52:53]
	v_mul_f64 v[52:53], v[104:105], v[52:53]
	v_fma_f64 v[152:153], v[102:103], v[54:55], -v[52:53]
	v_accvgpr_read_b32 v102, a224
	v_accvgpr_read_b32 v104, a226
	;; [unrolled: 1-line block ×4, first 2 shown]
	s_waitcnt lgkmcnt(4)
	v_mul_f64 v[154:155], v[104:105], v[112:113]
	v_mul_f64 v[52:53], v[104:105], v[110:111]
	v_fmac_f64_e32 v[154:155], v[102:103], v[110:111]
	v_fma_f64 v[156:157], v[102:103], v[112:113], -v[52:53]
	v_accvgpr_read_b32 v102, a220
	v_accvgpr_read_b32 v104, a222
	v_accvgpr_read_b32 v105, a223
	v_accvgpr_read_b32 v103, a221
	v_mul_f64 v[158:159], v[104:105], v[62:63]
	v_mul_f64 v[52:53], v[104:105], v[60:61]
	v_fmac_f64_e32 v[158:159], v[102:103], v[60:61]
	v_fma_f64 v[60:61], v[102:103], v[62:63], -v[52:53]
	v_mul_f64 v[160:161], v[238:239], v[70:71]
	v_mul_f64 v[52:53], v[238:239], v[68:69]
	v_fmac_f64_e32 v[160:161], v[236:237], v[68:69]
	v_fma_f64 v[52:53], v[236:237], v[70:71], -v[52:53]
	v_accvgpr_read_b32 v68, a240
	v_mul_f64 v[162:163], v[234:235], v[58:59]
	v_accvgpr_read_b32 v70, a242
	v_accvgpr_read_b32 v71, a243
	v_fmac_f64_e32 v[162:163], v[232:233], v[56:57]
	v_mul_f64 v[54:55], v[234:235], v[56:57]
	v_accvgpr_read_b32 v69, a241
	v_mul_f64 v[164:165], v[70:71], v[78:79]
	v_mul_f64 v[56:57], v[70:71], v[76:77]
	v_fmac_f64_e32 v[164:165], v[68:69], v[76:77]
	v_fma_f64 v[56:57], v[68:69], v[78:79], -v[56:57]
	v_accvgpr_read_b32 v68, a236
	v_accvgpr_read_b32 v70, a238
	;; [unrolled: 1-line block ×4, first 2 shown]
	v_mul_f64 v[166:167], v[70:71], v[66:67]
	v_fma_f64 v[54:55], v[232:233], v[58:59], -v[54:55]
	v_fmac_f64_e32 v[166:167], v[68:69], v[64:65]
	v_mul_f64 v[58:59], v[70:71], v[64:65]
	v_mul_f64 v[64:65], v[254:255], v[72:73]
	;; [unrolled: 1-line block ×6, first 2 shown]
	v_fma_f64 v[58:59], v[68:69], v[66:67], -v[58:59]
	v_fma_f64 v[68:69], v[252:253], v[74:75], -v[64:65]
	v_mul_f64 v[64:65], v[250:251], v[90:91]
	v_mul_f64 v[76:77], v[246:247], v[88:89]
	v_fma_f64 v[102:103], v[12:13], v[108:109], -v[14:15]
	v_fmac_f64_e32 v[114:115], v[0:1], v[118:119]
	v_fma_f64 v[108:109], v[0:1], v[120:121], -v[2:3]
	v_mul_f64 v[0:1], v[30:31], v[122:123]
	v_mul_f64 v[62:63], v[254:255], v[74:75]
	v_fma_f64 v[70:71], v[248:249], v[92:93], -v[64:65]
	v_fmac_f64_e32 v[76:77], v[244:245], v[86:87]
	v_mul_f64 v[64:65], v[246:247], v[86:87]
	v_fma_f64 v[86:87], v[28:29], v[124:125], -v[0:1]
	s_waitcnt lgkmcnt(3)
	v_mul_f64 v[0:1], v[26:27], v[126:127]
	v_fmac_f64_e32 v[62:63], v[252:253], v[72:73]
	v_mul_f64 v[66:67], v[250:251], v[92:93]
	v_fma_f64 v[72:73], v[244:245], v[88:89], -v[64:65]
	v_fma_f64 v[88:89], v[24:25], v[128:129], -v[0:1]
	s_waitcnt lgkmcnt(1)
	v_mul_f64 v[0:1], v[22:23], v[140:141]
	v_fmac_f64_e32 v[66:67], v[248:249], v[90:91]
	v_fma_f64 v[90:91], v[20:21], v[142:143], -v[0:1]
	s_waitcnt lgkmcnt(0)
	v_mul_f64 v[0:1], v[18:19], v[144:145]
	v_fma_f64 v[92:93], v[16:17], v[146:147], -v[0:1]
	v_add_f64 v[0:1], v[32:33], v[134:135]
	v_add_f64 v[0:1], v[0:1], v[150:151]
	v_mul_f64 v[112:113], v[6:7], v[132:133]
	v_mul_f64 v[6:7], v[6:7], v[130:131]
	v_add_f64 v[0:1], v[0:1], v[154:155]
	v_mad_u64_u32 v[82:83], s[0:1], s6, v226, 0
	v_fmac_f64_e32 v[78:79], v[12:13], v[106:107]
	v_fmac_f64_e32 v[112:113], v[4:5], v[130:131]
	v_fma_f64 v[106:107], v[4:5], v[132:133], -v[6:7]
	v_add_f64 v[4:5], v[0:1], v[158:159]
	v_add_f64 v[0:1], v[150:151], v[154:155]
	s_mov_b32 s2, 0x134454ff
	v_mov_b32_e32 v80, s10
	v_mov_b32_e32 v81, s11
	v_mul_f64 v[110:111], v[10:11], v[96:97]
	v_mul_f64 v[10:11], v[10:11], v[94:95]
	v_fma_f64 v[0:1], -0.5, v[0:1], v[32:33]
	v_add_f64 v[2:3], v[148:149], -v[60:61]
	s_mov_b32 s3, 0xbfee6f0e
	s_mov_b32 s0, 0x4755a5e
	;; [unrolled: 1-line block ×4, first 2 shown]
	v_fmac_f64_e32 v[110:111], v[8:9], v[94:95]
	v_fma_f64 v[104:105], v[8:9], v[96:97], -v[10:11]
	v_fma_f64 v[8:9], s[2:3], v[2:3], v[0:1]
	v_add_f64 v[6:7], v[152:153], -v[156:157]
	s_mov_b32 s1, 0xbfe2cf23
	v_add_f64 v[10:11], v[134:135], -v[150:151]
	v_add_f64 v[12:13], v[158:159], -v[154:155]
	s_mov_b32 s8, 0x372fe950
	v_fmac_f64_e32 v[0:1], s[10:11], v[2:3]
	s_mov_b32 s13, 0x3fe2cf23
	s_mov_b32 s12, s0
	v_fmac_f64_e32 v[8:9], s[0:1], v[6:7]
	v_add_f64 v[10:11], v[10:11], v[12:13]
	s_mov_b32 s9, 0x3fd3c6ef
	v_fmac_f64_e32 v[0:1], s[12:13], v[6:7]
	v_fmac_f64_e32 v[8:9], s[8:9], v[10:11]
	;; [unrolled: 1-line block ×3, first 2 shown]
	v_add_f64 v[10:11], v[134:135], v[158:159]
	v_fmac_f64_e32 v[32:33], -0.5, v[10:11]
	v_fma_f64 v[12:13], s[10:11], v[6:7], v[32:33]
	v_fmac_f64_e32 v[32:33], s[2:3], v[6:7]
	v_fmac_f64_e32 v[12:13], s[0:1], v[2:3]
	;; [unrolled: 1-line block ×3, first 2 shown]
	v_add_f64 v[2:3], v[34:35], v[148:149]
	v_add_f64 v[2:3], v[2:3], v[152:153]
	v_mul_f64 v[64:65], v[242:243], v[98:99]
	v_add_f64 v[2:3], v[2:3], v[156:157]
	v_mul_f64 v[116:117], v[242:243], v[100:101]
	v_fma_f64 v[74:75], v[240:241], v[100:101], -v[64:65]
	v_mul_f64 v[100:101], v[18:19], v[146:147]
	v_add_f64 v[10:11], v[150:151], -v[134:135]
	v_add_f64 v[14:15], v[154:155], -v[158:159]
	v_add_f64 v[6:7], v[2:3], v[60:61]
	v_add_f64 v[2:3], v[152:153], v[156:157]
	v_fmac_f64_e32 v[116:117], v[240:241], v[98:99]
	v_mul_f64 v[98:99], v[22:23], v[142:143]
	v_fmac_f64_e32 v[100:101], v[16:17], v[144:145]
	v_add_f64 v[10:11], v[10:11], v[14:15]
	v_fma_f64 v[2:3], -0.5, v[2:3], v[34:35]
	v_add_f64 v[16:17], v[134:135], -v[158:159]
	v_fmac_f64_e32 v[98:99], v[20:21], v[140:141]
	v_fmac_f64_e32 v[12:13], s[8:9], v[10:11]
	v_fmac_f64_e32 v[32:33], s[8:9], v[10:11]
	v_fma_f64 v[10:11], s[10:11], v[16:17], v[2:3]
	v_add_f64 v[18:19], v[150:151], -v[154:155]
	v_add_f64 v[14:15], v[148:149], -v[152:153]
	v_add_f64 v[20:21], v[60:61], -v[156:157]
	v_fmac_f64_e32 v[2:3], s[2:3], v[16:17]
	v_fmac_f64_e32 v[10:11], s[12:13], v[18:19]
	v_add_f64 v[14:15], v[14:15], v[20:21]
	v_fmac_f64_e32 v[2:3], s[0:1], v[18:19]
	v_fmac_f64_e32 v[10:11], s[8:9], v[14:15]
	;; [unrolled: 1-line block ×3, first 2 shown]
	v_add_f64 v[14:15], v[148:149], v[60:61]
	v_fmac_f64_e32 v[34:35], -0.5, v[14:15]
	v_fma_f64 v[14:15], s[2:3], v[18:19], v[34:35]
	v_fmac_f64_e32 v[34:35], s[10:11], v[18:19]
	v_fmac_f64_e32 v[14:15], s[12:13], v[16:17]
	;; [unrolled: 1-line block ×3, first 2 shown]
	v_add_f64 v[16:17], v[36:37], v[160:161]
	v_add_f64 v[20:21], v[152:153], -v[148:149]
	v_add_f64 v[22:23], v[156:157], -v[60:61]
	v_add_f64 v[16:17], v[16:17], v[162:163]
	v_add_f64 v[20:21], v[20:21], v[22:23]
	;; [unrolled: 1-line block ×3, first 2 shown]
	v_fmac_f64_e32 v[14:15], s[8:9], v[20:21]
	v_fmac_f64_e32 v[34:35], s[8:9], v[20:21]
	v_add_f64 v[20:21], v[16:17], v[166:167]
	v_add_f64 v[16:17], v[162:163], v[164:165]
	v_mul_f64 v[94:95], v[30:31], v[124:125]
	v_mul_f64 v[96:97], v[26:27], v[128:129]
	v_fma_f64 v[16:17], -0.5, v[16:17], v[36:37]
	v_add_f64 v[18:19], v[52:53], -v[58:59]
	v_fmac_f64_e32 v[94:95], v[28:29], v[122:123]
	v_fmac_f64_e32 v[96:97], v[24:25], v[126:127]
	v_fma_f64 v[24:25], s[2:3], v[18:19], v[16:17]
	v_add_f64 v[22:23], v[54:55], -v[56:57]
	v_add_f64 v[26:27], v[160:161], -v[162:163]
	;; [unrolled: 1-line block ×3, first 2 shown]
	v_fmac_f64_e32 v[16:17], s[10:11], v[18:19]
	v_fmac_f64_e32 v[24:25], s[0:1], v[22:23]
	v_add_f64 v[26:27], v[26:27], v[28:29]
	v_fmac_f64_e32 v[16:17], s[12:13], v[22:23]
	v_fmac_f64_e32 v[24:25], s[8:9], v[26:27]
	;; [unrolled: 1-line block ×3, first 2 shown]
	v_add_f64 v[26:27], v[160:161], v[166:167]
	v_fmac_f64_e32 v[36:37], -0.5, v[26:27]
	v_fma_f64 v[28:29], s[10:11], v[22:23], v[36:37]
	v_fmac_f64_e32 v[36:37], s[2:3], v[22:23]
	v_fmac_f64_e32 v[28:29], s[0:1], v[18:19]
	;; [unrolled: 1-line block ×3, first 2 shown]
	v_add_f64 v[18:19], v[38:39], v[52:53]
	v_add_f64 v[18:19], v[18:19], v[54:55]
	;; [unrolled: 1-line block ×3, first 2 shown]
	v_add_f64 v[26:27], v[162:163], -v[160:161]
	v_add_f64 v[30:31], v[164:165], -v[166:167]
	v_add_f64 v[22:23], v[18:19], v[58:59]
	v_add_f64 v[18:19], v[54:55], v[56:57]
	;; [unrolled: 1-line block ×3, first 2 shown]
	v_fma_f64 v[18:19], -0.5, v[18:19], v[38:39]
	v_add_f64 v[60:61], v[160:161], -v[166:167]
	v_fmac_f64_e32 v[28:29], s[8:9], v[26:27]
	v_fmac_f64_e32 v[36:37], s[8:9], v[26:27]
	v_fma_f64 v[26:27], s[10:11], v[60:61], v[18:19]
	v_add_f64 v[64:65], v[162:163], -v[164:165]
	v_add_f64 v[30:31], v[52:53], -v[54:55]
	;; [unrolled: 1-line block ×3, first 2 shown]
	v_fmac_f64_e32 v[18:19], s[2:3], v[60:61]
	v_fmac_f64_e32 v[26:27], s[12:13], v[64:65]
	v_add_f64 v[30:31], v[30:31], v[118:119]
	v_fmac_f64_e32 v[18:19], s[0:1], v[64:65]
	v_fmac_f64_e32 v[26:27], s[8:9], v[30:31]
	;; [unrolled: 1-line block ×3, first 2 shown]
	v_add_f64 v[30:31], v[52:53], v[58:59]
	v_fmac_f64_e32 v[38:39], -0.5, v[30:31]
	v_fma_f64 v[30:31], s[2:3], v[64:65], v[38:39]
	v_add_f64 v[52:53], v[54:55], -v[52:53]
	v_add_f64 v[54:55], v[56:57], -v[58:59]
	v_fmac_f64_e32 v[38:39], s[10:11], v[64:65]
	v_fmac_f64_e32 v[30:31], s[12:13], v[60:61]
	v_add_f64 v[52:53], v[52:53], v[54:55]
	v_fmac_f64_e32 v[38:39], s[0:1], v[60:61]
	v_fmac_f64_e32 v[30:31], s[8:9], v[52:53]
	;; [unrolled: 1-line block ×3, first 2 shown]
	v_add_f64 v[52:53], v[44:45], v[62:63]
	v_add_f64 v[52:53], v[52:53], v[66:67]
	v_add_f64 v[52:53], v[52:53], v[76:77]
	v_add_f64 v[56:57], v[52:53], v[116:117]
	v_add_f64 v[52:53], v[66:67], v[76:77]
	v_fma_f64 v[52:53], -0.5, v[52:53], v[44:45]
	v_add_f64 v[54:55], v[68:69], -v[74:75]
	v_fma_f64 v[60:61], s[2:3], v[54:55], v[52:53]
	v_add_f64 v[58:59], v[70:71], -v[72:73]
	v_add_f64 v[64:65], v[62:63], -v[66:67]
	;; [unrolled: 1-line block ×3, first 2 shown]
	v_fmac_f64_e32 v[52:53], s[10:11], v[54:55]
	v_fmac_f64_e32 v[60:61], s[0:1], v[58:59]
	v_add_f64 v[64:65], v[64:65], v[118:119]
	v_fmac_f64_e32 v[52:53], s[12:13], v[58:59]
	v_fmac_f64_e32 v[60:61], s[8:9], v[64:65]
	;; [unrolled: 1-line block ×3, first 2 shown]
	v_add_f64 v[64:65], v[62:63], v[116:117]
	v_fmac_f64_e32 v[44:45], -0.5, v[64:65]
	v_fma_f64 v[64:65], s[10:11], v[58:59], v[44:45]
	v_fmac_f64_e32 v[44:45], s[2:3], v[58:59]
	v_fmac_f64_e32 v[64:65], s[0:1], v[54:55]
	;; [unrolled: 1-line block ×3, first 2 shown]
	v_add_f64 v[54:55], v[46:47], v[68:69]
	v_add_f64 v[54:55], v[54:55], v[70:71]
	;; [unrolled: 1-line block ×3, first 2 shown]
	v_add_f64 v[118:119], v[66:67], -v[62:63]
	v_add_f64 v[120:121], v[76:77], -v[116:117]
	v_add_f64 v[58:59], v[54:55], v[74:75]
	v_add_f64 v[54:55], v[70:71], v[72:73]
	;; [unrolled: 1-line block ×3, first 2 shown]
	v_fma_f64 v[54:55], -0.5, v[54:55], v[46:47]
	v_add_f64 v[116:117], v[62:63], -v[116:117]
	v_fmac_f64_e32 v[64:65], s[8:9], v[118:119]
	v_fmac_f64_e32 v[44:45], s[8:9], v[118:119]
	v_fma_f64 v[62:63], s[10:11], v[116:117], v[54:55]
	v_add_f64 v[76:77], v[66:67], -v[76:77]
	v_add_f64 v[66:67], v[68:69], -v[70:71]
	;; [unrolled: 1-line block ×3, first 2 shown]
	v_fmac_f64_e32 v[54:55], s[2:3], v[116:117]
	v_fmac_f64_e32 v[62:63], s[12:13], v[76:77]
	v_add_f64 v[66:67], v[66:67], v[118:119]
	v_fmac_f64_e32 v[54:55], s[0:1], v[76:77]
	v_fmac_f64_e32 v[62:63], s[8:9], v[66:67]
	;; [unrolled: 1-line block ×3, first 2 shown]
	v_add_f64 v[66:67], v[68:69], v[74:75]
	v_fmac_f64_e32 v[46:47], -0.5, v[66:67]
	v_fma_f64 v[66:67], s[2:3], v[76:77], v[46:47]
	v_add_f64 v[68:69], v[70:71], -v[68:69]
	v_add_f64 v[70:71], v[72:73], -v[74:75]
	v_fmac_f64_e32 v[46:47], s[10:11], v[76:77]
	v_fmac_f64_e32 v[66:67], s[12:13], v[116:117]
	v_add_f64 v[68:69], v[68:69], v[70:71]
	v_fmac_f64_e32 v[46:47], s[0:1], v[116:117]
	v_fmac_f64_e32 v[66:67], s[8:9], v[68:69]
	;; [unrolled: 1-line block ×3, first 2 shown]
	v_add_f64 v[68:69], v[40:41], v[78:79]
	v_add_f64 v[68:69], v[68:69], v[110:111]
	;; [unrolled: 1-line block ×5, first 2 shown]
	v_fma_f64 v[68:69], -0.5, v[68:69], v[40:41]
	v_add_f64 v[70:71], v[102:103], -v[108:109]
	v_fma_f64 v[76:77], s[2:3], v[70:71], v[68:69]
	v_add_f64 v[74:75], v[104:105], -v[106:107]
	v_add_f64 v[116:117], v[78:79], -v[110:111]
	;; [unrolled: 1-line block ×3, first 2 shown]
	v_fmac_f64_e32 v[68:69], s[10:11], v[70:71]
	v_fmac_f64_e32 v[76:77], s[0:1], v[74:75]
	v_add_f64 v[116:117], v[116:117], v[118:119]
	v_fmac_f64_e32 v[68:69], s[12:13], v[74:75]
	v_fmac_f64_e32 v[76:77], s[8:9], v[116:117]
	;; [unrolled: 1-line block ×3, first 2 shown]
	v_add_f64 v[116:117], v[78:79], v[114:115]
	v_fmac_f64_e32 v[40:41], -0.5, v[116:117]
	v_fma_f64 v[116:117], s[10:11], v[74:75], v[40:41]
	v_fmac_f64_e32 v[40:41], s[2:3], v[74:75]
	v_fmac_f64_e32 v[116:117], s[0:1], v[70:71]
	;; [unrolled: 1-line block ×3, first 2 shown]
	v_add_f64 v[70:71], v[42:43], v[102:103]
	v_add_f64 v[70:71], v[70:71], v[104:105]
	;; [unrolled: 1-line block ×3, first 2 shown]
	v_add_f64 v[118:119], v[110:111], -v[78:79]
	v_add_f64 v[120:121], v[112:113], -v[114:115]
	v_add_f64 v[74:75], v[70:71], v[108:109]
	v_add_f64 v[70:71], v[104:105], v[106:107]
	;; [unrolled: 1-line block ×3, first 2 shown]
	v_fma_f64 v[70:71], -0.5, v[70:71], v[42:43]
	v_add_f64 v[114:115], v[78:79], -v[114:115]
	v_fmac_f64_e32 v[116:117], s[8:9], v[118:119]
	v_fmac_f64_e32 v[40:41], s[8:9], v[118:119]
	v_fma_f64 v[78:79], s[10:11], v[114:115], v[70:71]
	v_add_f64 v[110:111], v[110:111], -v[112:113]
	v_add_f64 v[112:113], v[102:103], -v[104:105]
	;; [unrolled: 1-line block ×3, first 2 shown]
	v_fmac_f64_e32 v[70:71], s[2:3], v[114:115]
	v_fmac_f64_e32 v[78:79], s[12:13], v[110:111]
	v_add_f64 v[112:113], v[112:113], v[118:119]
	v_fmac_f64_e32 v[70:71], s[0:1], v[110:111]
	v_fmac_f64_e32 v[78:79], s[8:9], v[112:113]
	;; [unrolled: 1-line block ×3, first 2 shown]
	v_add_f64 v[112:113], v[102:103], v[108:109]
	v_add_f64 v[102:103], v[104:105], -v[102:103]
	v_add_f64 v[104:105], v[106:107], -v[108:109]
	v_fmac_f64_e32 v[42:43], -0.5, v[112:113]
	v_add_f64 v[102:103], v[102:103], v[104:105]
	v_add_f64 v[104:105], v[96:97], v[98:99]
	v_fma_f64 v[118:119], s[2:3], v[110:111], v[42:43]
	v_fmac_f64_e32 v[42:43], s[10:11], v[110:111]
	v_fma_f64 v[106:107], -0.5, v[104:105], v[48:49]
	v_add_f64 v[104:105], v[86:87], -v[92:93]
	v_fmac_f64_e32 v[118:119], s[12:13], v[114:115]
	v_fmac_f64_e32 v[42:43], s[0:1], v[114:115]
	v_fma_f64 v[110:111], s[2:3], v[104:105], v[106:107]
	v_add_f64 v[108:109], v[88:89], -v[90:91]
	v_add_f64 v[112:113], v[94:95], -v[96:97]
	;; [unrolled: 1-line block ×3, first 2 shown]
	v_fmac_f64_e32 v[106:107], s[10:11], v[104:105]
	v_fmac_f64_e32 v[110:111], s[0:1], v[108:109]
	v_add_f64 v[112:113], v[112:113], v[114:115]
	v_fmac_f64_e32 v[106:107], s[12:13], v[108:109]
	v_fmac_f64_e32 v[110:111], s[8:9], v[112:113]
	;; [unrolled: 1-line block ×3, first 2 shown]
	v_add_f64 v[112:113], v[94:95], v[100:101]
	v_fmac_f64_e32 v[118:119], s[8:9], v[102:103]
	v_fmac_f64_e32 v[42:43], s[8:9], v[102:103]
	v_add_f64 v[102:103], v[48:49], v[94:95]
	v_fmac_f64_e32 v[48:49], -0.5, v[112:113]
	v_add_f64 v[102:103], v[102:103], v[96:97]
	v_fma_f64 v[120:121], s[10:11], v[108:109], v[48:49]
	v_add_f64 v[112:113], v[96:97], -v[94:95]
	v_add_f64 v[114:115], v[98:99], -v[100:101]
	v_fmac_f64_e32 v[48:49], s[2:3], v[108:109]
	v_add_f64 v[108:109], v[88:89], v[90:91]
	v_add_f64 v[102:103], v[102:103], v[98:99]
	v_fmac_f64_e32 v[120:121], s[0:1], v[104:105]
	v_add_f64 v[112:113], v[112:113], v[114:115]
	v_fmac_f64_e32 v[48:49], s[12:13], v[104:105]
	v_fma_f64 v[108:109], -0.5, v[108:109], v[50:51]
	v_add_f64 v[94:95], v[94:95], -v[100:101]
	v_add_f64 v[102:103], v[102:103], v[100:101]
	v_fmac_f64_e32 v[120:121], s[8:9], v[112:113]
	v_fmac_f64_e32 v[48:49], s[8:9], v[112:113]
	v_fma_f64 v[112:113], s[10:11], v[94:95], v[108:109]
	v_add_f64 v[96:97], v[96:97], -v[98:99]
	v_add_f64 v[98:99], v[86:87], -v[88:89]
	v_add_f64 v[100:101], v[92:93], -v[90:91]
	v_fmac_f64_e32 v[108:109], s[2:3], v[94:95]
	v_fmac_f64_e32 v[112:113], s[12:13], v[96:97]
	v_add_f64 v[98:99], v[98:99], v[100:101]
	v_fmac_f64_e32 v[108:109], s[0:1], v[96:97]
	v_fmac_f64_e32 v[112:113], s[8:9], v[98:99]
	;; [unrolled: 1-line block ×3, first 2 shown]
	v_add_f64 v[98:99], v[86:87], v[92:93]
	v_add_f64 v[104:105], v[50:51], v[86:87]
	v_fmac_f64_e32 v[50:51], -0.5, v[98:99]
	v_add_f64 v[104:105], v[104:105], v[88:89]
	v_fma_f64 v[122:123], s[2:3], v[96:97], v[50:51]
	v_add_f64 v[86:87], v[88:89], -v[86:87]
	v_add_f64 v[88:89], v[90:91], -v[92:93]
	v_fmac_f64_e32 v[50:51], s[10:11], v[96:97]
	v_add_f64 v[104:105], v[104:105], v[90:91]
	v_fmac_f64_e32 v[122:123], s[12:13], v[94:95]
	v_add_f64 v[86:87], v[86:87], v[88:89]
	;; [unrolled: 2-line block ×3, first 2 shown]
	v_fmac_f64_e32 v[122:123], s[8:9], v[86:87]
	v_fmac_f64_e32 v[50:51], s[8:9], v[86:87]
	ds_write_b128 v184, v[4:7]
	ds_write_b128 v184, v[8:11] offset:3120
	ds_write_b128 v184, v[12:15] offset:6240
	;; [unrolled: 1-line block ×24, first 2 shown]
	s_waitcnt lgkmcnt(0)
	s_barrier
	ds_read_b128 v[0:3], v184
	v_mov_b32_e32 v84, v83
	v_mad_u64_u32 v[4:5], s[0:1], s7, v226, v[84:85]
	v_mov_b32_e32 v83, v4
	ds_read_b128 v[4:7], v184 offset:1200
	s_waitcnt lgkmcnt(1)
	v_mul_f64 v[8:9], v[230:231], v[2:3]
	v_fmac_f64_e32 v[8:9], v[228:229], v[0:1]
	s_mov_b32 s0, 0xaa677344
	v_mul_f64 v[0:1], v[230:231], v[0:1]
	s_mov_b32 s1, 0x3f50cdd9
	v_fma_f64 v[0:1], v[228:229], v[2:3], -v[0:1]
	v_mul_f64 v[10:11], v[0:1], s[0:1]
	v_mad_u64_u32 v[0:1], s[2:3], s4, v224, 0
	v_mov_b32_e32 v2, v1
	v_mad_u64_u32 v[2:3], s[2:3], s5, v224, v[2:3]
	v_mov_b32_e32 v1, v2
	v_lshl_add_u64 v[2:3], v[82:83], 4, v[80:81]
	v_mul_f64 v[8:9], v[8:9], s[0:1]
	v_lshl_add_u64 v[12:13], v[0:1], 4, v[2:3]
	global_store_dwordx4 v[12:13], v[8:11], off
	s_mul_i32 s2, s5, 0x4b
	s_mul_hi_u32 s3, s4, 0x4b
	v_accvgpr_read_b32 v8, a34
	v_accvgpr_read_b32 v10, a36
	;; [unrolled: 1-line block ×4, first 2 shown]
	s_waitcnt lgkmcnt(0)
	v_mul_f64 v[0:1], v[10:11], v[6:7]
	v_mul_f64 v[2:3], v[10:11], v[4:5]
	v_fmac_f64_e32 v[0:1], v[8:9], v[4:5]
	v_fma_f64 v[2:3], v[8:9], v[6:7], -v[2:3]
	ds_read_b128 v[4:7], v184 offset:2400
	s_add_i32 s3, s3, s2
	s_mul_i32 s2, s4, 0x4b
	s_lshl_b64 s[2:3], s[2:3], 4
	v_accvgpr_read_b32 v17, a13
	v_mul_f64 v[0:1], v[0:1], s[0:1]
	v_mul_f64 v[2:3], v[2:3], s[0:1]
	v_lshl_add_u64 v[12:13], v[12:13], 0, s[2:3]
	v_accvgpr_read_b32 v16, a12
	global_store_dwordx4 v[12:13], v[0:3], off
	ds_read_b128 v[0:3], v184 offset:3600
	v_accvgpr_read_b32 v15, a11
	v_accvgpr_read_b32 v14, a10
	s_waitcnt lgkmcnt(1)
	v_mul_f64 v[8:9], v[16:17], v[6:7]
	v_fmac_f64_e32 v[8:9], v[14:15], v[4:5]
	v_mul_f64 v[4:5], v[16:17], v[4:5]
	v_fma_f64 v[4:5], v[14:15], v[6:7], -v[4:5]
	v_mul_f64 v[8:9], v[8:9], s[0:1]
	v_mul_f64 v[10:11], v[4:5], s[0:1]
	v_lshl_add_u64 v[12:13], v[12:13], 0, s[2:3]
	global_store_dwordx4 v[12:13], v[8:11], off
	v_accvgpr_read_b32 v6, a30
	v_accvgpr_read_b32 v7, a31
	;; [unrolled: 1-line block ×4, first 2 shown]
	s_waitcnt lgkmcnt(0)
	v_mul_f64 v[4:5], v[8:9], v[2:3]
	v_fmac_f64_e32 v[4:5], v[6:7], v[0:1]
	v_mul_f64 v[0:1], v[8:9], v[0:1]
	v_fma_f64 v[6:7], v[6:7], v[2:3], -v[0:1]
	ds_read_b128 v[0:3], v184 offset:4800
	v_accvgpr_read_b32 v14, a18
	v_mul_f64 v[4:5], v[4:5], s[0:1]
	v_mul_f64 v[6:7], v[6:7], s[0:1]
	v_lshl_add_u64 v[12:13], v[12:13], 0, s[2:3]
	v_accvgpr_read_b32 v16, a20
	v_accvgpr_read_b32 v17, a21
	global_store_dwordx4 v[12:13], v[4:7], off
	ds_read_b128 v[4:7], v184 offset:6000
	v_accvgpr_read_b32 v15, a19
	s_waitcnt lgkmcnt(1)
	v_mul_f64 v[8:9], v[16:17], v[2:3]
	v_fmac_f64_e32 v[8:9], v[14:15], v[0:1]
	v_mul_f64 v[0:1], v[16:17], v[0:1]
	v_fma_f64 v[0:1], v[14:15], v[2:3], -v[0:1]
	v_mul_f64 v[8:9], v[8:9], s[0:1]
	v_mul_f64 v[10:11], v[0:1], s[0:1]
	v_lshl_add_u64 v[12:13], v[12:13], 0, s[2:3]
	global_store_dwordx4 v[12:13], v[8:11], off
	v_accvgpr_read_b32 v14, a14
	v_lshl_add_u64 v[12:13], v[12:13], 0, s[2:3]
	v_accvgpr_read_b32 v8, a38
	v_accvgpr_read_b32 v10, a40
	v_accvgpr_read_b32 v11, a41
	v_accvgpr_read_b32 v9, a39
	s_waitcnt lgkmcnt(0)
	v_mul_f64 v[0:1], v[10:11], v[6:7]
	v_mul_f64 v[2:3], v[10:11], v[4:5]
	v_fmac_f64_e32 v[0:1], v[8:9], v[4:5]
	v_fma_f64 v[2:3], v[8:9], v[6:7], -v[2:3]
	ds_read_b128 v[4:7], v184 offset:7200
	v_mul_f64 v[0:1], v[0:1], s[0:1]
	v_mul_f64 v[2:3], v[2:3], s[0:1]
	v_accvgpr_read_b32 v16, a16
	v_accvgpr_read_b32 v17, a17
	global_store_dwordx4 v[12:13], v[0:3], off
	ds_read_b128 v[0:3], v184 offset:8400
	v_accvgpr_read_b32 v15, a15
	s_waitcnt lgkmcnt(1)
	v_mul_f64 v[8:9], v[16:17], v[6:7]
	v_fmac_f64_e32 v[8:9], v[14:15], v[4:5]
	v_mul_f64 v[4:5], v[16:17], v[4:5]
	v_fma_f64 v[4:5], v[14:15], v[6:7], -v[4:5]
	v_mul_f64 v[8:9], v[8:9], s[0:1]
	v_mul_f64 v[10:11], v[4:5], s[0:1]
	v_lshl_add_u64 v[12:13], v[12:13], 0, s[2:3]
	global_store_dwordx4 v[12:13], v[8:11], off
	v_accvgpr_read_b32 v6, a46
	v_accvgpr_read_b32 v7, a47
	;; [unrolled: 1-line block ×4, first 2 shown]
	s_waitcnt lgkmcnt(0)
	v_mul_f64 v[4:5], v[8:9], v[2:3]
	v_fmac_f64_e32 v[4:5], v[6:7], v[0:1]
	v_mul_f64 v[0:1], v[8:9], v[0:1]
	v_fma_f64 v[6:7], v[6:7], v[2:3], -v[0:1]
	ds_read_b128 v[0:3], v184 offset:9600
	v_accvgpr_read_b32 v14, a22
	v_mul_f64 v[4:5], v[4:5], s[0:1]
	v_mul_f64 v[6:7], v[6:7], s[0:1]
	v_lshl_add_u64 v[12:13], v[12:13], 0, s[2:3]
	v_accvgpr_read_b32 v16, a24
	v_accvgpr_read_b32 v17, a25
	global_store_dwordx4 v[12:13], v[4:7], off
	ds_read_b128 v[4:7], v184 offset:10800
	v_accvgpr_read_b32 v15, a23
	s_waitcnt lgkmcnt(1)
	v_mul_f64 v[8:9], v[16:17], v[2:3]
	v_fmac_f64_e32 v[8:9], v[14:15], v[0:1]
	v_mul_f64 v[0:1], v[16:17], v[0:1]
	v_fma_f64 v[0:1], v[14:15], v[2:3], -v[0:1]
	v_mul_f64 v[8:9], v[8:9], s[0:1]
	v_mul_f64 v[10:11], v[0:1], s[0:1]
	v_lshl_add_u64 v[12:13], v[12:13], 0, s[2:3]
	global_store_dwordx4 v[12:13], v[8:11], off
	v_accvgpr_read_b32 v14, a26
	v_lshl_add_u64 v[12:13], v[12:13], 0, s[2:3]
	v_accvgpr_read_b32 v8, a54
	v_accvgpr_read_b32 v10, a56
	;; [unrolled: 1-line block ×4, first 2 shown]
	s_waitcnt lgkmcnt(0)
	v_mul_f64 v[0:1], v[10:11], v[6:7]
	v_mul_f64 v[2:3], v[10:11], v[4:5]
	v_fmac_f64_e32 v[0:1], v[8:9], v[4:5]
	v_fma_f64 v[2:3], v[8:9], v[6:7], -v[2:3]
	ds_read_b128 v[4:7], v184 offset:12000
	v_mul_f64 v[0:1], v[0:1], s[0:1]
	v_mul_f64 v[2:3], v[2:3], s[0:1]
	v_accvgpr_read_b32 v16, a28
	v_accvgpr_read_b32 v17, a29
	global_store_dwordx4 v[12:13], v[0:3], off
	ds_read_b128 v[0:3], v184 offset:13200
	v_accvgpr_read_b32 v15, a27
	s_waitcnt lgkmcnt(1)
	v_mul_f64 v[8:9], v[16:17], v[6:7]
	v_fmac_f64_e32 v[8:9], v[14:15], v[4:5]
	v_mul_f64 v[4:5], v[16:17], v[4:5]
	v_fma_f64 v[4:5], v[14:15], v[6:7], -v[4:5]
	v_mul_f64 v[8:9], v[8:9], s[0:1]
	v_mul_f64 v[10:11], v[4:5], s[0:1]
	v_lshl_add_u64 v[12:13], v[12:13], 0, s[2:3]
	global_store_dwordx4 v[12:13], v[8:11], off
	v_accvgpr_read_b32 v6, a42
	v_accvgpr_read_b32 v7, a43
	v_accvgpr_read_b32 v8, a44
	v_accvgpr_read_b32 v9, a45
	s_waitcnt lgkmcnt(0)
	v_mul_f64 v[4:5], v[8:9], v[2:3]
	v_fmac_f64_e32 v[4:5], v[6:7], v[0:1]
	v_mul_f64 v[0:1], v[8:9], v[0:1]
	v_fma_f64 v[0:1], v[6:7], v[2:3], -v[0:1]
	v_mul_f64 v[6:7], v[0:1], s[0:1]
	v_lshl_add_u64 v[0:1], v[12:13], 0, s[2:3]
	v_accvgpr_read_b32 v15, a52             ;  Reload Reuse
	v_accvgpr_read_b32 v14, a53             ;  Reload Reuse
	scratch_load_dwordx2 v[12:13], off, off offset:32 ; 8-byte Folded Reload
	ds_read_b128 v[8:11], v184 offset:14400
	v_mul_f64 v[4:5], v[4:5], s[0:1]
	global_store_dwordx4 v[0:1], v[4:7], off
	v_lshl_add_u64 v[0:1], v[0:1], 0, s[2:3]
	s_waitcnt lgkmcnt(0)
	v_mul_f64 v[2:3], v[14:15], v[10:11]
	v_mul_f64 v[4:5], v[14:15], v[8:9]
	s_waitcnt vmcnt(1)
	v_fmac_f64_e32 v[2:3], v[12:13], v[8:9]
	v_fma_f64 v[4:5], v[12:13], v[10:11], -v[4:5]
	v_mul_f64 v[2:3], v[2:3], s[0:1]
	v_mul_f64 v[4:5], v[4:5], s[0:1]
	global_store_dwordx4 v[0:1], v[2:5], off
	s_and_b64 exec, exec, vcc
	s_cbranch_execz .LBB0_23
; %bb.22:
	global_load_dwordx4 v[2:5], v[222:223], off offset:624
	ds_read_b128 v[6:9], v184 offset:624
	ds_read_b128 v[10:13], v184 offset:1824
	v_mov_b32_e32 v14, 0xffffca30
	s_mulk_i32 s5, 0xca30
	v_mad_u64_u32 v[14:15], s[6:7], s4, v14, v[0:1]
	s_sub_i32 s4, s5, s4
	v_add_u32_e32 v15, s4, v15
	s_movk_i32 s4, 0x1000
	s_waitcnt vmcnt(0) lgkmcnt(1)
	v_mul_f64 v[0:1], v[8:9], v[4:5]
	v_mul_f64 v[4:5], v[6:7], v[4:5]
	v_fmac_f64_e32 v[0:1], v[6:7], v[2:3]
	v_fma_f64 v[2:3], v[2:3], v[8:9], -v[4:5]
	v_mul_f64 v[0:1], v[0:1], s[0:1]
	v_mul_f64 v[2:3], v[2:3], s[0:1]
	global_store_dwordx4 v[14:15], v[0:3], off
	global_load_dwordx4 v[0:3], v[222:223], off offset:1824
	v_lshl_add_u64 v[14:15], v[14:15], 0, s[2:3]
	s_waitcnt vmcnt(0) lgkmcnt(0)
	v_mul_f64 v[4:5], v[12:13], v[2:3]
	v_mul_f64 v[2:3], v[10:11], v[2:3]
	v_fmac_f64_e32 v[4:5], v[10:11], v[0:1]
	v_fma_f64 v[2:3], v[0:1], v[12:13], -v[2:3]
	v_mul_f64 v[0:1], v[4:5], s[0:1]
	v_mul_f64 v[2:3], v[2:3], s[0:1]
	global_store_dwordx4 v[14:15], v[0:3], off
	global_load_dwordx4 v[0:3], v[222:223], off offset:3024
	ds_read_b128 v[4:7], v184 offset:3024
	ds_read_b128 v[8:11], v184 offset:4224
	v_add_co_u32_e32 v12, vcc, s4, v222
	v_lshl_add_u64 v[14:15], v[14:15], 0, s[2:3]
	s_nop 0
	v_addc_co_u32_e32 v13, vcc, 0, v223, vcc
	s_movk_i32 s4, 0x2000
	s_waitcnt vmcnt(0) lgkmcnt(1)
	v_mul_f64 v[16:17], v[6:7], v[2:3]
	v_mul_f64 v[2:3], v[4:5], v[2:3]
	v_fmac_f64_e32 v[16:17], v[4:5], v[0:1]
	v_fma_f64 v[2:3], v[0:1], v[6:7], -v[2:3]
	v_mul_f64 v[0:1], v[16:17], s[0:1]
	v_mul_f64 v[2:3], v[2:3], s[0:1]
	global_store_dwordx4 v[14:15], v[0:3], off
	global_load_dwordx4 v[0:3], v[12:13], off offset:128
	v_lshl_add_u64 v[14:15], v[14:15], 0, s[2:3]
	s_waitcnt vmcnt(0) lgkmcnt(0)
	v_mul_f64 v[4:5], v[10:11], v[2:3]
	v_mul_f64 v[2:3], v[8:9], v[2:3]
	v_fmac_f64_e32 v[4:5], v[8:9], v[0:1]
	v_fma_f64 v[2:3], v[0:1], v[10:11], -v[2:3]
	v_mul_f64 v[0:1], v[4:5], s[0:1]
	v_mul_f64 v[2:3], v[2:3], s[0:1]
	global_store_dwordx4 v[14:15], v[0:3], off
	global_load_dwordx4 v[0:3], v[12:13], off offset:1328
	ds_read_b128 v[4:7], v184 offset:5424
	ds_read_b128 v[8:11], v184 offset:6624
	v_lshl_add_u64 v[14:15], v[14:15], 0, s[2:3]
	s_waitcnt vmcnt(0) lgkmcnt(1)
	v_mul_f64 v[16:17], v[6:7], v[2:3]
	v_mul_f64 v[2:3], v[4:5], v[2:3]
	v_fmac_f64_e32 v[16:17], v[4:5], v[0:1]
	v_fma_f64 v[2:3], v[0:1], v[6:7], -v[2:3]
	v_mul_f64 v[0:1], v[16:17], s[0:1]
	v_mul_f64 v[2:3], v[2:3], s[0:1]
	global_store_dwordx4 v[14:15], v[0:3], off
	global_load_dwordx4 v[0:3], v[12:13], off offset:2528
	v_lshl_add_u64 v[14:15], v[14:15], 0, s[2:3]
	s_waitcnt vmcnt(0) lgkmcnt(0)
	v_mul_f64 v[4:5], v[10:11], v[2:3]
	v_mul_f64 v[2:3], v[8:9], v[2:3]
	v_fmac_f64_e32 v[4:5], v[8:9], v[0:1]
	v_fma_f64 v[2:3], v[0:1], v[10:11], -v[2:3]
	v_mul_f64 v[0:1], v[4:5], s[0:1]
	v_mul_f64 v[2:3], v[2:3], s[0:1]
	global_store_dwordx4 v[14:15], v[0:3], off
	global_load_dwordx4 v[0:3], v[12:13], off offset:3728
	ds_read_b128 v[4:7], v184 offset:7824
	ds_read_b128 v[8:11], v184 offset:9024
	v_add_co_u32_e32 v12, vcc, s4, v222
	v_lshl_add_u64 v[14:15], v[14:15], 0, s[2:3]
	s_nop 0
	v_addc_co_u32_e32 v13, vcc, 0, v223, vcc
	s_movk_i32 s4, 0x3000
	s_waitcnt vmcnt(0) lgkmcnt(1)
	v_mul_f64 v[16:17], v[6:7], v[2:3]
	v_mul_f64 v[2:3], v[4:5], v[2:3]
	v_fmac_f64_e32 v[16:17], v[4:5], v[0:1]
	v_fma_f64 v[2:3], v[0:1], v[6:7], -v[2:3]
	v_mul_f64 v[0:1], v[16:17], s[0:1]
	v_mul_f64 v[2:3], v[2:3], s[0:1]
	global_store_dwordx4 v[14:15], v[0:3], off
	global_load_dwordx4 v[0:3], v[12:13], off offset:832
	v_lshl_add_u64 v[14:15], v[14:15], 0, s[2:3]
	s_waitcnt vmcnt(0) lgkmcnt(0)
	v_mul_f64 v[4:5], v[10:11], v[2:3]
	v_mul_f64 v[2:3], v[8:9], v[2:3]
	v_fmac_f64_e32 v[4:5], v[8:9], v[0:1]
	v_fma_f64 v[2:3], v[0:1], v[10:11], -v[2:3]
	v_mul_f64 v[0:1], v[4:5], s[0:1]
	v_mul_f64 v[2:3], v[2:3], s[0:1]
	global_store_dwordx4 v[14:15], v[0:3], off
	global_load_dwordx4 v[0:3], v[12:13], off offset:2032
	ds_read_b128 v[4:7], v184 offset:10224
	ds_read_b128 v[8:11], v184 offset:11424
	v_lshl_add_u64 v[14:15], v[14:15], 0, s[2:3]
	s_waitcnt vmcnt(0) lgkmcnt(1)
	v_mul_f64 v[16:17], v[6:7], v[2:3]
	v_mul_f64 v[2:3], v[4:5], v[2:3]
	v_fmac_f64_e32 v[16:17], v[4:5], v[0:1]
	v_fma_f64 v[2:3], v[0:1], v[6:7], -v[2:3]
	v_mul_f64 v[0:1], v[16:17], s[0:1]
	v_mul_f64 v[2:3], v[2:3], s[0:1]
	global_store_dwordx4 v[14:15], v[0:3], off
	global_load_dwordx4 v[0:3], v[12:13], off offset:3232
	v_add_co_u32_e32 v12, vcc, s4, v222
	v_lshl_add_u64 v[14:15], v[14:15], 0, s[2:3]
	s_nop 0
	v_addc_co_u32_e32 v13, vcc, 0, v223, vcc
	s_waitcnt vmcnt(0) lgkmcnt(0)
	v_mul_f64 v[4:5], v[10:11], v[2:3]
	v_mul_f64 v[2:3], v[8:9], v[2:3]
	v_fmac_f64_e32 v[4:5], v[8:9], v[0:1]
	v_fma_f64 v[2:3], v[0:1], v[10:11], -v[2:3]
	v_mul_f64 v[0:1], v[4:5], s[0:1]
	v_mul_f64 v[2:3], v[2:3], s[0:1]
	global_store_dwordx4 v[14:15], v[0:3], off
	global_load_dwordx4 v[0:3], v[12:13], off offset:336
	ds_read_b128 v[4:7], v184 offset:12624
	ds_read_b128 v[8:11], v184 offset:13824
	v_lshl_add_u64 v[14:15], v[14:15], 0, s[2:3]
	s_waitcnt vmcnt(0) lgkmcnt(1)
	v_mul_f64 v[16:17], v[6:7], v[2:3]
	v_mul_f64 v[2:3], v[4:5], v[2:3]
	v_fmac_f64_e32 v[16:17], v[4:5], v[0:1]
	v_fma_f64 v[2:3], v[0:1], v[6:7], -v[2:3]
	v_mul_f64 v[0:1], v[16:17], s[0:1]
	v_mul_f64 v[2:3], v[2:3], s[0:1]
	global_store_dwordx4 v[14:15], v[0:3], off
	global_load_dwordx4 v[0:3], v[12:13], off offset:1536
	v_lshl_add_u64 v[14:15], v[14:15], 0, s[2:3]
	s_waitcnt vmcnt(0) lgkmcnt(0)
	v_mul_f64 v[4:5], v[10:11], v[2:3]
	v_mul_f64 v[2:3], v[8:9], v[2:3]
	v_fmac_f64_e32 v[4:5], v[8:9], v[0:1]
	v_fma_f64 v[2:3], v[0:1], v[10:11], -v[2:3]
	v_mul_f64 v[0:1], v[4:5], s[0:1]
	v_mul_f64 v[2:3], v[2:3], s[0:1]
	global_store_dwordx4 v[14:15], v[0:3], off
	global_load_dwordx4 v[0:3], v[12:13], off offset:2736
	ds_read_b128 v[4:7], v184 offset:15024
	s_waitcnt vmcnt(0) lgkmcnt(0)
	v_mul_f64 v[8:9], v[6:7], v[2:3]
	v_mul_f64 v[2:3], v[4:5], v[2:3]
	v_fmac_f64_e32 v[8:9], v[4:5], v[0:1]
	v_fma_f64 v[2:3], v[0:1], v[6:7], -v[2:3]
	v_mul_f64 v[0:1], v[8:9], s[0:1]
	v_mul_f64 v[2:3], v[2:3], s[0:1]
	v_lshl_add_u64 v[4:5], v[14:15], 0, s[2:3]
	global_store_dwordx4 v[4:5], v[0:3], off
.LBB0_23:
	s_endpgm
	.section	.rodata,"a",@progbits
	.p2align	6, 0x0
	.amdhsa_kernel bluestein_single_fwd_len975_dim1_dp_op_CI_CI
		.amdhsa_group_segment_fixed_size 46800
		.amdhsa_private_segment_fixed_size 52
		.amdhsa_kernarg_size 104
		.amdhsa_user_sgpr_count 2
		.amdhsa_user_sgpr_dispatch_ptr 0
		.amdhsa_user_sgpr_queue_ptr 0
		.amdhsa_user_sgpr_kernarg_segment_ptr 1
		.amdhsa_user_sgpr_dispatch_id 0
		.amdhsa_user_sgpr_kernarg_preload_length 0
		.amdhsa_user_sgpr_kernarg_preload_offset 0
		.amdhsa_user_sgpr_private_segment_size 0
		.amdhsa_uses_dynamic_stack 0
		.amdhsa_enable_private_segment 1
		.amdhsa_system_sgpr_workgroup_id_x 1
		.amdhsa_system_sgpr_workgroup_id_y 0
		.amdhsa_system_sgpr_workgroup_id_z 0
		.amdhsa_system_sgpr_workgroup_info 0
		.amdhsa_system_vgpr_workitem_id 0
		.amdhsa_next_free_vgpr 512
		.amdhsa_next_free_sgpr 50
		.amdhsa_accum_offset 256
		.amdhsa_reserve_vcc 1
		.amdhsa_float_round_mode_32 0
		.amdhsa_float_round_mode_16_64 0
		.amdhsa_float_denorm_mode_32 3
		.amdhsa_float_denorm_mode_16_64 3
		.amdhsa_dx10_clamp 1
		.amdhsa_ieee_mode 1
		.amdhsa_fp16_overflow 0
		.amdhsa_tg_split 0
		.amdhsa_exception_fp_ieee_invalid_op 0
		.amdhsa_exception_fp_denorm_src 0
		.amdhsa_exception_fp_ieee_div_zero 0
		.amdhsa_exception_fp_ieee_overflow 0
		.amdhsa_exception_fp_ieee_underflow 0
		.amdhsa_exception_fp_ieee_inexact 0
		.amdhsa_exception_int_div_zero 0
	.end_amdhsa_kernel
	.text
.Lfunc_end0:
	.size	bluestein_single_fwd_len975_dim1_dp_op_CI_CI, .Lfunc_end0-bluestein_single_fwd_len975_dim1_dp_op_CI_CI
                                        ; -- End function
	.section	.AMDGPU.csdata,"",@progbits
; Kernel info:
; codeLenInByte = 41104
; NumSgprs: 56
; NumVgprs: 256
; NumAgprs: 256
; TotalNumVgprs: 512
; ScratchSize: 52
; MemoryBound: 0
; FloatMode: 240
; IeeeMode: 1
; LDSByteSize: 46800 bytes/workgroup (compile time only)
; SGPRBlocks: 6
; VGPRBlocks: 63
; NumSGPRsForWavesPerEU: 56
; NumVGPRsForWavesPerEU: 512
; AccumOffset: 256
; Occupancy: 1
; WaveLimiterHint : 1
; COMPUTE_PGM_RSRC2:SCRATCH_EN: 1
; COMPUTE_PGM_RSRC2:USER_SGPR: 2
; COMPUTE_PGM_RSRC2:TRAP_HANDLER: 0
; COMPUTE_PGM_RSRC2:TGID_X_EN: 1
; COMPUTE_PGM_RSRC2:TGID_Y_EN: 0
; COMPUTE_PGM_RSRC2:TGID_Z_EN: 0
; COMPUTE_PGM_RSRC2:TIDIG_COMP_CNT: 0
; COMPUTE_PGM_RSRC3_GFX90A:ACCUM_OFFSET: 63
; COMPUTE_PGM_RSRC3_GFX90A:TG_SPLIT: 0
	.text
	.p2alignl 6, 3212836864
	.fill 256, 4, 3212836864
	.type	__hip_cuid_7b85d464124f89e7,@object ; @__hip_cuid_7b85d464124f89e7
	.section	.bss,"aw",@nobits
	.globl	__hip_cuid_7b85d464124f89e7
__hip_cuid_7b85d464124f89e7:
	.byte	0                               ; 0x0
	.size	__hip_cuid_7b85d464124f89e7, 1

	.ident	"AMD clang version 19.0.0git (https://github.com/RadeonOpenCompute/llvm-project roc-6.4.0 25133 c7fe45cf4b819c5991fe208aaa96edf142730f1d)"
	.section	".note.GNU-stack","",@progbits
	.addrsig
	.addrsig_sym __hip_cuid_7b85d464124f89e7
	.amdgpu_metadata
---
amdhsa.kernels:
  - .agpr_count:     256
    .args:
      - .actual_access:  read_only
        .address_space:  global
        .offset:         0
        .size:           8
        .value_kind:     global_buffer
      - .actual_access:  read_only
        .address_space:  global
        .offset:         8
        .size:           8
        .value_kind:     global_buffer
      - .actual_access:  read_only
        .address_space:  global
        .offset:         16
        .size:           8
        .value_kind:     global_buffer
      - .actual_access:  read_only
        .address_space:  global
        .offset:         24
        .size:           8
        .value_kind:     global_buffer
      - .actual_access:  read_only
        .address_space:  global
        .offset:         32
        .size:           8
        .value_kind:     global_buffer
      - .offset:         40
        .size:           8
        .value_kind:     by_value
      - .address_space:  global
        .offset:         48
        .size:           8
        .value_kind:     global_buffer
      - .address_space:  global
        .offset:         56
        .size:           8
        .value_kind:     global_buffer
      - .address_space:  global
        .offset:         64
        .size:           8
        .value_kind:     global_buffer
      - .address_space:  global
        .offset:         72
        .size:           8
        .value_kind:     global_buffer
      - .offset:         80
        .size:           4
        .value_kind:     by_value
      - .address_space:  global
        .offset:         88
        .size:           8
        .value_kind:     global_buffer
      - .address_space:  global
        .offset:         96
        .size:           8
        .value_kind:     global_buffer
    .group_segment_fixed_size: 46800
    .kernarg_segment_align: 8
    .kernarg_segment_size: 104
    .language:       OpenCL C
    .language_version:
      - 2
      - 0
    .max_flat_workgroup_size: 117
    .name:           bluestein_single_fwd_len975_dim1_dp_op_CI_CI
    .private_segment_fixed_size: 52
    .sgpr_count:     56
    .sgpr_spill_count: 0
    .symbol:         bluestein_single_fwd_len975_dim1_dp_op_CI_CI.kd
    .uniform_work_group_size: 1
    .uses_dynamic_stack: false
    .vgpr_count:     512
    .vgpr_spill_count: 12
    .wavefront_size: 64
amdhsa.target:   amdgcn-amd-amdhsa--gfx950
amdhsa.version:
  - 1
  - 2
...

	.end_amdgpu_metadata
